;; amdgpu-corpus repo=ROCm/rocFFT kind=compiled arch=gfx1030 opt=O3
	.text
	.amdgcn_target "amdgcn-amd-amdhsa--gfx1030"
	.amdhsa_code_object_version 6
	.protected	bluestein_single_fwd_len170_dim1_dp_op_CI_CI ; -- Begin function bluestein_single_fwd_len170_dim1_dp_op_CI_CI
	.globl	bluestein_single_fwd_len170_dim1_dp_op_CI_CI
	.p2align	8
	.type	bluestein_single_fwd_len170_dim1_dp_op_CI_CI,@function
bluestein_single_fwd_len170_dim1_dp_op_CI_CI: ; @bluestein_single_fwd_len170_dim1_dp_op_CI_CI
; %bb.0:
	s_mov_b64 s[62:63], s[2:3]
	s_mov_b64 s[60:61], s[0:1]
	s_load_dwordx4 s[0:3], s[4:5], 0x28
	v_mul_u32_u24_e32 v1, 0xf10, v0
	s_add_u32 s60, s60, s7
	s_addc_u32 s61, s61, 0
	v_lshrrev_b32_e32 v1, 16, v1
	v_mad_u64_u32 v[120:121], null, s6, 7, v[1:2]
	v_mov_b32_e32 v121, 0
	s_waitcnt lgkmcnt(0)
	v_cmp_gt_u64_e32 vcc_lo, s[0:1], v[120:121]
	s_and_saveexec_b32 s0, vcc_lo
	s_cbranch_execz .LBB0_15
; %bb.1:
	v_mul_hi_u32 v2, 0x24924925, v120
	v_mul_lo_u16 v1, v1, 17
	s_clause 0x1
	s_load_dwordx2 s[12:13], s[4:5], 0x0
	s_load_dwordx2 s[14:15], s[4:5], 0x38
	v_sub_nc_u16 v0, v0, v1
	v_sub_nc_u32_e32 v3, v120, v2
	v_cmp_gt_u16_e32 vcc_lo, 10, v0
	v_lshrrev_b32_e32 v3, 1, v3
	v_add_nc_u32_e32 v2, v3, v2
	v_lshrrev_b32_e32 v2, 2, v2
	v_mul_lo_u32 v2, v2, 7
	v_sub_nc_u32_e32 v1, v120, v2
	v_and_b32_e32 v2, 0xffff, v0
	v_mul_u32_u24_e32 v1, 0xaa, v1
	v_or_b32_e32 v0, 0x50, v2
	v_lshlrev_b32_e32 v255, 4, v2
	buffer_store_dword v0, off, s[60:63], 0 offset:52 ; 4-byte Folded Spill
	buffer_store_dword v1, off, s[60:63], 0 offset:4 ; 4-byte Folded Spill
	v_lshlrev_b32_e32 v0, 4, v1
	buffer_store_dword v0, off, s[60:63], 0 offset:8 ; 4-byte Folded Spill
	buffer_store_dword v2, off, s[60:63], 0 ; 4-byte Folded Spill
	v_or_b32_e32 v0, 0xa0, v2
	buffer_store_dword v0, off, s[60:63], 0 offset:48 ; 4-byte Folded Spill
	s_and_saveexec_b32 s1, vcc_lo
	s_cbranch_execz .LBB0_3
; %bb.2:
	s_load_dwordx2 s[6:7], s[4:5], 0x18
	s_waitcnt lgkmcnt(0)
	v_add_co_u32 v26, s0, s12, v255
	v_add_co_ci_u32_e64 v27, null, s13, 0, s0
	s_load_dwordx4 s[8:11], s[6:7], 0x0
	s_clause 0x1
	global_load_dwordx4 v[0:3], v255, s[12:13]
	global_load_dwordx4 v[4:7], v255, s[12:13] offset:160
	buffer_load_dword v155, off, s[60:63], 0 ; 4-byte Folded Reload
	s_clause 0x7
	global_load_dwordx4 v[8:11], v255, s[12:13] offset:320
	global_load_dwordx4 v[12:15], v255, s[12:13] offset:480
	;; [unrolled: 1-line block ×8, first 2 shown]
	s_waitcnt lgkmcnt(0)
	v_mad_u64_u32 v[24:25], null, s10, v120, 0
	s_mul_i32 s6, s9, 0xa0
	s_mul_hi_u32 s7, s8, 0xa0
	s_add_i32 s7, s7, s6
	s_waitcnt vmcnt(8)
	v_mad_u64_u32 v[56:57], null, s8, v155, 0
	v_or_b32_e32 v63, 0x50, v155
	v_mov_b32_e32 v44, v57
	v_mad_u64_u32 v[57:58], null, s11, v120, v[25:26]
	v_mad_u64_u32 v[58:59], null, s9, v155, v[44:45]
	;; [unrolled: 1-line block ×3, first 2 shown]
	v_mov_b32_e32 v25, v57
	s_clause 0x2
	global_load_dwordx4 v[44:47], v255, s[12:13] offset:1600
	global_load_dwordx4 v[48:51], v255, s[12:13] offset:1760
	;; [unrolled: 1-line block ×3, first 2 shown]
	v_mov_b32_e32 v57, v58
	v_lshlrev_b64 v[24:25], 4, v[24:25]
	v_or_b32_e32 v58, 0xa0, v155
	v_lshlrev_b64 v[56:57], 4, v[56:57]
	v_add_co_u32 v66, s0, s2, v24
	v_add_co_ci_u32_e64 v67, s0, s3, v25, s0
	s_mul_i32 s2, s8, 0xa0
	v_add_co_u32 v24, s0, v66, v56
	v_add_co_ci_u32_e64 v25, s0, v67, v57, s0
	v_mad_u64_u32 v[61:62], null, s8, v58, 0
	v_add_co_u32 v72, s0, v24, s2
	v_add_co_ci_u32_e64 v73, s0, s7, v25, s0
	v_mov_b32_e32 v56, v60
	v_add_co_u32 v76, s0, v72, s2
	v_add_co_ci_u32_e64 v77, s0, s7, v73, s0
	v_mov_b32_e32 v57, v62
	v_add_co_u32 v78, s0, v76, s2
	v_add_co_ci_u32_e64 v79, s0, s7, v77, s0
	v_mad_u64_u32 v[62:63], null, s9, v63, v[56:57]
	v_add_co_u32 v80, s0, v78, s2
	v_add_co_ci_u32_e64 v81, s0, s7, v79, s0
	v_mad_u64_u32 v[56:57], null, s9, v58, v[57:58]
	v_add_co_u32 v84, s0, v80, s2
	v_add_co_ci_u32_e64 v85, s0, s7, v81, s0
	v_mov_b32_e32 v60, v62
	v_add_co_u32 v88, s0, v84, s2
	v_mov_b32_e32 v62, v56
	v_add_co_ci_u32_e64 v89, s0, s7, v85, s0
	v_lshlrev_b64 v[56:57], 4, v[59:60]
	v_add_co_u32 v92, s0, v88, s2
	v_lshlrev_b32_e32 v60, 4, v58
	v_lshlrev_b64 v[58:59], 4, v[61:62]
	v_add_co_ci_u32_e64 v93, s0, s7, v89, s0
	v_add_co_u32 v64, s0, v66, v56
	v_add_co_ci_u32_e64 v65, s0, v67, v57, s0
	v_add_co_u32 v68, s0, v66, v58
	v_add_co_ci_u32_e64 v69, s0, v67, v59, s0
	global_load_dwordx4 v[56:59], v60, s[12:13]
	s_clause 0x3
	global_load_dwordx4 v[60:63], v[24:25], off
	global_load_dwordx4 v[64:67], v[64:65], off
	;; [unrolled: 1-line block ×4, first 2 shown]
	v_mad_u64_u32 v[96:97], null, 0x140, s8, v[92:93]
	v_add_co_u32 v129, s0, 0x800, v26
	v_add_co_ci_u32_e64 v130, s0, 0, v27, s0
	v_mov_b32_e32 v24, v97
	v_add_co_u32 v100, s0, v96, s2
	v_mad_u64_u32 v[94:95], null, 0x140, s9, v[24:25]
	s_clause 0x2
	global_load_dwordx4 v[24:27], v[76:77], off
	global_load_dwordx4 v[76:79], v[78:79], off
	;; [unrolled: 1-line block ×5, first 2 shown]
	v_mov_b32_e32 v97, v94
	global_load_dwordx4 v[92:95], v[92:93], off
	v_add_co_ci_u32_e64 v101, s0, s7, v97, s0
	v_add_co_u32 v104, s0, v100, s2
	global_load_dwordx4 v[96:99], v[96:97], off
	v_add_co_ci_u32_e64 v105, s0, s7, v101, s0
	v_add_co_u32 v108, s0, v104, s2
	;; [unrolled: 3-line block ×5, first 2 shown]
	global_load_dwordx4 v[112:115], v[112:113], off
	v_add_co_ci_u32_e64 v134, s0, s7, v126, s0
	s_clause 0x1
	global_load_dwordx4 v[116:119], v[129:130], off offset:32
	global_load_dwordx4 v[121:124], v[129:130], off offset:192
	global_load_dwordx4 v[125:128], v[125:126], off
	global_load_dwordx4 v[129:132], v[129:130], off offset:352
	global_load_dwordx4 v[133:136], v[133:134], off
	s_waitcnt vmcnt(19)
	v_mul_f64 v[137:138], v[62:63], v[2:3]
	v_mul_f64 v[2:3], v[60:61], v[2:3]
	s_waitcnt vmcnt(18)
	v_mul_f64 v[139:140], v[66:67], v[38:39]
	v_mul_f64 v[38:39], v[64:65], v[38:39]
	;; [unrolled: 3-line block ×3, first 2 shown]
	v_mul_f64 v[141:142], v[70:71], v[58:59]
	v_mul_f64 v[151:152], v[68:69], v[58:59]
	s_waitcnt vmcnt(15)
	v_mul_f64 v[147:148], v[26:27], v[10:11]
	v_mul_f64 v[10:11], v[24:25], v[10:11]
	s_waitcnt vmcnt(14)
	;; [unrolled: 3-line block ×3, first 2 shown]
	v_mul_f64 v[153:154], v[82:83], v[18:19]
	v_mul_f64 v[18:19], v[80:81], v[18:19]
	v_fma_f64 v[58:59], v[60:61], v[0:1], v[137:138]
	v_fma_f64 v[60:61], v[62:63], v[0:1], -v[2:3]
	v_fma_f64 v[0:1], v[64:65], v[36:37], v[139:140]
	v_fma_f64 v[2:3], v[66:67], v[36:37], -v[38:39]
	;; [unrolled: 2-line block ×3, first 2 shown]
	s_waitcnt vmcnt(11)
	v_mul_f64 v[4:5], v[90:91], v[30:31]
	v_mul_f64 v[62:63], v[86:87], v[22:23]
	;; [unrolled: 1-line block ×4, first 2 shown]
	v_fma_f64 v[6:7], v[68:69], v[56:57], v[141:142]
	s_waitcnt vmcnt(9)
	v_mul_f64 v[66:67], v[98:99], v[42:43]
	v_mul_f64 v[42:43], v[96:97], v[42:43]
	v_fma_f64 v[22:23], v[24:25], v[8:9], v[147:148]
	v_fma_f64 v[24:25], v[26:27], v[8:9], -v[10:11]
	v_mul_f64 v[8:9], v[94:95], v[34:35]
	v_mul_f64 v[34:35], v[92:93], v[34:35]
	s_waitcnt vmcnt(8)
	v_mul_f64 v[68:69], v[102:103], v[46:47]
	v_mul_f64 v[46:47], v[100:101], v[46:47]
	v_fma_f64 v[10:11], v[76:77], v[12:13], v[149:150]
	s_waitcnt vmcnt(7)
	v_mul_f64 v[72:73], v[106:107], v[50:51]
	v_mul_f64 v[50:51], v[104:105], v[50:51]
	v_fma_f64 v[12:13], v[78:79], v[12:13], -v[14:15]
	v_fma_f64 v[14:15], v[80:81], v[16:17], v[153:154]
	v_fma_f64 v[16:17], v[82:83], v[16:17], -v[18:19]
	s_waitcnt vmcnt(6)
	v_mul_f64 v[74:75], v[110:111], v[54:55]
	v_mul_f64 v[54:55], v[108:109], v[54:55]
	v_fma_f64 v[26:27], v[88:89], v[28:29], v[4:5]
	buffer_load_dword v4, off, s[60:63], 0 offset:4 ; 4-byte Folded Reload
	v_fma_f64 v[18:19], v[84:85], v[20:21], v[62:63]
	s_waitcnt vmcnt(5)
	v_mul_f64 v[76:77], v[114:115], v[118:119]
	v_mul_f64 v[78:79], v[112:113], v[118:119]
	s_waitcnt vmcnt(3)
	v_mul_f64 v[118:119], v[127:128], v[123:124]
	v_mul_f64 v[123:124], v[125:126], v[123:124]
	;; [unrolled: 3-line block ×3, first 2 shown]
	v_fma_f64 v[20:21], v[86:87], v[20:21], -v[64:65]
	v_fma_f64 v[28:29], v[90:91], v[28:29], -v[30:31]
	v_fma_f64 v[30:31], v[92:93], v[32:33], v[8:9]
	v_fma_f64 v[32:33], v[94:95], v[32:33], -v[34:35]
	v_fma_f64 v[62:63], v[96:97], v[40:41], v[66:67]
	;; [unrolled: 2-line block ×4, first 2 shown]
	v_fma_f64 v[46:47], v[106:107], v[48:49], -v[50:51]
	v_fma_f64 v[8:9], v[70:71], v[56:57], -v[151:152]
	v_fma_f64 v[48:49], v[108:109], v[52:53], v[74:75]
	v_fma_f64 v[50:51], v[110:111], v[52:53], -v[54:55]
	v_fma_f64 v[52:53], v[112:113], v[116:117], v[76:77]
	;; [unrolled: 2-line block ×4, first 2 shown]
	v_fma_f64 v[74:75], v[135:136], v[129:130], -v[131:132]
	s_waitcnt vmcnt(0)
	v_lshlrev_b32_e32 v5, 4, v4
	v_lshl_add_u32 v4, v155, 4, v5
	v_add_nc_u32_e32 v5, v5, v255
	ds_write_b128 v4, v[58:61]
	ds_write_b128 v5, v[0:3] offset:1280
	ds_write_b128 v5, v[36:39] offset:160
	;; [unrolled: 1-line block ×16, first 2 shown]
.LBB0_3:
	s_or_b32 exec_lo, exec_lo, s1
	s_load_dwordx2 s[0:1], s[4:5], 0x20
	s_waitcnt lgkmcnt(0)
	s_waitcnt_vscnt null, 0x0
	s_barrier
	buffer_gl0_inv
                                        ; implicit-def: $vgpr32_vgpr33
                                        ; implicit-def: $vgpr48_vgpr49
                                        ; implicit-def: $vgpr52_vgpr53
                                        ; implicit-def: $vgpr56_vgpr57
                                        ; implicit-def: $vgpr60_vgpr61
                                        ; implicit-def: $vgpr64_vgpr65
                                        ; implicit-def: $vgpr68_vgpr69
                                        ; implicit-def: $vgpr72_vgpr73
                                        ; implicit-def: $vgpr80_vgpr81
                                        ; implicit-def: $vgpr84_vgpr85
                                        ; implicit-def: $vgpr88_vgpr89
                                        ; implicit-def: $vgpr92_vgpr93
                                        ; implicit-def: $vgpr76_vgpr77
                                        ; implicit-def: $vgpr44_vgpr45
                                        ; implicit-def: $vgpr40_vgpr41
                                        ; implicit-def: $vgpr36_vgpr37
                                        ; implicit-def: $vgpr28_vgpr29
	s_and_saveexec_b32 s2, vcc_lo
	s_cbranch_execz .LBB0_5
; %bb.4:
	buffer_load_dword v0, off, s[60:63], 0 offset:4 ; 4-byte Folded Reload
	s_waitcnt vmcnt(0)
	v_lshl_add_u32 v0, v0, 4, v255
	ds_read_b128 v[32:35], v0
	ds_read_b128 v[48:51], v0 offset:160
	ds_read_b128 v[52:55], v0 offset:320
	ds_read_b128 v[56:59], v0 offset:480
	ds_read_b128 v[60:63], v0 offset:640
	ds_read_b128 v[64:67], v0 offset:800
	ds_read_b128 v[68:71], v0 offset:960
	ds_read_b128 v[72:75], v0 offset:1120
	ds_read_b128 v[80:83], v0 offset:1280
	ds_read_b128 v[84:87], v0 offset:1440
	ds_read_b128 v[88:91], v0 offset:1600
	ds_read_b128 v[92:95], v0 offset:1760
	ds_read_b128 v[76:79], v0 offset:1920
	ds_read_b128 v[44:47], v0 offset:2080
	ds_read_b128 v[40:43], v0 offset:2240
	ds_read_b128 v[36:39], v0 offset:2400
	ds_read_b128 v[28:31], v0 offset:2560
.LBB0_5:
	s_or_b32 exec_lo, exec_lo, s2
	s_waitcnt lgkmcnt(0)
	v_add_f64 v[114:115], v[50:51], -v[30:31]
	v_add_f64 v[199:200], v[48:49], -v[28:29]
	s_mov_b32 s26, 0x5d8e7cdc
	s_mov_b32 s27, 0xbfd71e95
	v_add_f64 v[96:97], v[54:55], -v[38:39]
	v_add_f64 v[165:166], v[52:53], -v[36:37]
	s_mov_b32 s30, 0x2a9d6da3
	s_mov_b32 s31, 0xbfe58eea
	;; [unrolled: 4-line block ×3, first 2 shown]
	v_add_f64 v[179:180], v[48:49], v[28:29]
	v_add_f64 v[185:186], v[50:51], v[30:31]
	s_mov_b32 s2, 0x370991
	s_mov_b32 s3, 0x3fedd6d0
	v_add_f64 v[102:103], v[52:53], v[36:37]
	v_add_f64 v[106:107], v[54:55], v[38:39]
	s_mov_b32 s6, 0x75d4884
	s_mov_b32 s7, 0x3fe7a5f6
	v_add_f64 v[149:150], v[58:59], v[42:43]
	s_mov_b32 s8, 0x2b2883cd
	v_mul_f64 v[0:1], v[114:115], s[26:27]
	v_mul_f64 v[2:3], v[199:200], s[26:27]
	s_mov_b32 s9, 0x3fdc86fa
	v_add_f64 v[108:109], v[62:63], -v[46:47]
	v_mul_f64 v[4:5], v[96:97], s[30:31]
	v_mul_f64 v[6:7], v[165:166], s[30:31]
	v_add_f64 v[223:224], v[60:61], -v[44:45]
	s_mov_b32 s38, 0xeb564b22
	v_mul_f64 v[8:9], v[104:105], s[36:37]
	v_mul_f64 v[12:13], v[193:194], s[36:37]
	s_mov_b32 s39, 0xbfefdd0d
	v_add_f64 v[169:170], v[62:63], v[46:47]
	s_mov_b32 s10, 0x3259b75e
	s_mov_b32 s11, 0x3fb79ee6
	v_add_f64 v[161:162], v[66:67], -v[78:79]
	s_mov_b32 s18, 0x923c349f
	s_mov_b32 s19, 0xbfeec746
	v_add_f64 v[145:146], v[56:57], v[40:41]
	v_add_f64 v[98:99], v[60:61], v[44:45]
	;; [unrolled: 1-line block ×3, first 2 shown]
	s_mov_b32 s16, 0xc61f0d01
	s_mov_b32 s17, 0xbfd183b1
	buffer_store_dword v0, off, s[60:63], 0 offset:192 ; 4-byte Folded Spill
	buffer_store_dword v1, off, s[60:63], 0 offset:196 ; 4-byte Folded Spill
	;; [unrolled: 1-line block ×12, first 2 shown]
	v_mul_f64 v[10:11], v[108:109], s[38:39]
	buffer_store_dword v10, off, s[60:63], 0 offset:56 ; 4-byte Folded Spill
	buffer_store_dword v11, off, s[60:63], 0 offset:60 ; 4-byte Folded Spill
	v_add_f64 v[243:244], v[64:65], -v[76:77]
	v_add_f64 v[151:152], v[66:67], v[78:79]
	v_add_f64 v[163:164], v[70:71], -v[94:95]
	s_mov_b32 s28, 0x6c9a05f6
	s_mov_b32 s29, 0xbfe9895b
	v_add_f64 v[123:124], v[68:69], v[92:93]
	s_mov_b32 s20, 0x6ed5f1bb
	s_mov_b32 s21, 0xbfe348c8
	v_add_f64 v[247:248], v[68:69], -v[92:93]
	v_add_f64 v[137:138], v[70:71], v[94:95]
	v_add_f64 v[116:117], v[74:75], -v[90:91]
	s_mov_b32 s34, 0x4363dd80
	s_mov_b32 s35, 0xbfe0d888
	v_add_f64 v[110:111], v[72:73], v[88:89]
	s_mov_b32 s24, 0x910ea3b9
	s_mov_b32 s25, 0xbfeb34fa
	;; [unrolled: 8-line block ×3, first 2 shown]
	v_add_f64 v[147:148], v[80:81], -v[84:85]
	v_add_f64 v[141:142], v[82:83], v[86:87]
	s_mov_b32 s51, 0x3fe0d888
	s_mov_b32 s50, s34
	;; [unrolled: 1-line block ×10, first 2 shown]
	v_mul_f64 v[203:204], v[114:115], s[36:37]
	v_mul_f64 v[207:208], v[199:200], s[36:37]
	s_mov_b32 s45, 0x3fe58eea
	s_mov_b32 s44, s30
	v_mul_f64 v[217:218], v[114:115], s[38:39]
	v_mul_f64 v[225:226], v[199:200], s[38:39]
	s_mov_b32 s55, 0x3fe9895b
	s_mov_b32 s54, s28
	;; [unrolled: 1-line block ×4, first 2 shown]
	v_mul_f64 v[249:250], v[114:115], s[18:19]
	v_mul_f64 v[183:184], v[96:97], s[50:51]
	;; [unrolled: 1-line block ×23, first 2 shown]
	v_fma_f64 v[18:19], v[102:103], s[24:25], v[183:184]
	v_mul_f64 v[239:240], v[253:254], s[48:49]
	v_fma_f64 v[20:21], v[106:107], s[24:25], -v[189:190]
	v_mul_f64 v[235:236], v[131:132], s[40:41]
	v_mul_f64 v[241:242], v[147:148], s[40:41]
	;; [unrolled: 1-line block ×7, first 2 shown]
	v_fma_f64 v[22:23], v[102:103], s[16:17], v[209:210]
	v_mul_f64 v[129:130], v[193:194], s[38:39]
	v_fma_f64 v[24:25], v[106:107], s[16:17], -v[215:216]
	v_mul_f64 v[139:140], v[223:224], s[54:55]
	v_mul_f64 v[153:154], v[243:244], s[26:27]
	;; [unrolled: 1-line block ×4, first 2 shown]
	s_load_dwordx2 s[4:5], s[4:5], 0x8
	v_fma_f64 v[26:27], v[102:103], s[8:9], v[245:246]
	v_fma_f64 v[112:113], v[106:107], s[8:9], -v[121:122]
	v_fma_f64 v[0:1], v[179:180], s[2:3], v[0:1]
	v_fma_f64 v[2:3], v[185:186], s[2:3], -v[2:3]
	;; [unrolled: 2-line block ×3, first 2 shown]
	v_fma_f64 v[8:9], v[145:146], s[8:9], v[8:9]
	v_add_f64 v[0:1], v[32:33], v[0:1]
	v_add_f64 v[2:3], v[34:35], v[2:3]
	;; [unrolled: 1-line block ×3, first 2 shown]
	v_fma_f64 v[4:5], v[149:150], s[8:9], -v[12:13]
	v_add_f64 v[2:3], v[6:7], v[2:3]
	v_fma_f64 v[6:7], v[98:99], s[10:11], v[10:11]
	v_add_f64 v[0:1], v[8:9], v[0:1]
	v_add_f64 v[2:3], v[4:5], v[2:3]
	v_mul_f64 v[4:5], v[223:224], s[38:39]
	buffer_store_dword v4, off, s[60:63], 0 offset:160 ; 4-byte Folded Spill
	buffer_store_dword v5, off, s[60:63], 0 offset:164 ; 4-byte Folded Spill
	v_add_f64 v[0:1], v[6:7], v[0:1]
	v_fma_f64 v[4:5], v[169:170], s[10:11], -v[4:5]
	v_add_f64 v[2:3], v[4:5], v[2:3]
	v_mul_f64 v[4:5], v[161:162], s[18:19]
	buffer_store_dword v4, off, s[60:63], 0 offset:96 ; 4-byte Folded Spill
	buffer_store_dword v5, off, s[60:63], 0 offset:100 ; 4-byte Folded Spill
	v_fma_f64 v[4:5], v[133:134], s[16:17], v[4:5]
	v_add_f64 v[0:1], v[4:5], v[0:1]
	v_mul_f64 v[4:5], v[243:244], s[18:19]
	buffer_store_dword v4, off, s[60:63], 0 offset:128 ; 4-byte Folded Spill
	buffer_store_dword v5, off, s[60:63], 0 offset:132 ; 4-byte Folded Spill
	v_fma_f64 v[4:5], v[151:152], s[16:17], -v[4:5]
	v_add_f64 v[2:3], v[4:5], v[2:3]
	v_mul_f64 v[4:5], v[163:164], s[28:29]
	buffer_store_dword v4, off, s[60:63], 0 offset:80 ; 4-byte Folded Spill
	buffer_store_dword v5, off, s[60:63], 0 offset:84 ; 4-byte Folded Spill
	v_fma_f64 v[4:5], v[123:124], s[20:21], v[4:5]
	v_add_f64 v[0:1], v[4:5], v[0:1]
	v_mul_f64 v[4:5], v[247:248], s[28:29]
	buffer_store_dword v4, off, s[60:63], 0 offset:104 ; 4-byte Folded Spill
	buffer_store_dword v5, off, s[60:63], 0 offset:108 ; 4-byte Folded Spill
	;; [unrolled: 10-line block ×4, first 2 shown]
	v_fma_f64 v[4:5], v[141:142], s[22:23], -v[4:5]
	v_add_f64 v[2:3], v[4:5], v[2:3]
	buffer_store_dword v0, off, s[60:63], 0 offset:12 ; 4-byte Folded Spill
	buffer_store_dword v1, off, s[60:63], 0 offset:16 ; 4-byte Folded Spill
	;; [unrolled: 1-line block ×4, first 2 shown]
	v_mul_f64 v[0:1], v[114:115], s[30:31]
	buffer_store_dword v0, off, s[60:63], 0 offset:560 ; 4-byte Folded Spill
	buffer_store_dword v1, off, s[60:63], 0 offset:564 ; 4-byte Folded Spill
	v_fma_f64 v[4:5], v[179:180], s[6:7], v[0:1]
	v_mul_f64 v[0:1], v[96:97], s[38:39]
	buffer_store_dword v0, off, s[60:63], 0 offset:352 ; 4-byte Folded Spill
	buffer_store_dword v1, off, s[60:63], 0 offset:356 ; 4-byte Folded Spill
	v_add_f64 v[4:5], v[32:33], v[4:5]
	v_fma_f64 v[6:7], v[102:103], s[10:11], v[0:1]
	v_mul_f64 v[0:1], v[199:200], s[30:31]
	buffer_store_dword v0, off, s[60:63], 0 offset:568 ; 4-byte Folded Spill
	buffer_store_dword v1, off, s[60:63], 0 offset:572 ; 4-byte Folded Spill
	v_add_f64 v[4:5], v[6:7], v[4:5]
	v_fma_f64 v[6:7], v[185:186], s[6:7], -v[0:1]
	v_mul_f64 v[0:1], v[165:166], s[38:39]
	buffer_store_dword v0, off, s[60:63], 0 offset:376 ; 4-byte Folded Spill
	buffer_store_dword v1, off, s[60:63], 0 offset:380 ; 4-byte Folded Spill
	v_add_f64 v[6:7], v[34:35], v[6:7]
	v_fma_f64 v[8:9], v[106:107], s[10:11], -v[0:1]
	v_mul_f64 v[0:1], v[104:105], s[28:29]
	buffer_store_dword v0, off, s[60:63], 0 offset:344 ; 4-byte Folded Spill
	buffer_store_dword v1, off, s[60:63], 0 offset:348 ; 4-byte Folded Spill
	v_add_f64 v[6:7], v[8:9], v[6:7]
	v_fma_f64 v[8:9], v[145:146], s[20:21], v[0:1]
	v_mul_f64 v[0:1], v[193:194], s[28:29]
	buffer_store_dword v0, off, s[60:63], 0 offset:360 ; 4-byte Folded Spill
	buffer_store_dword v1, off, s[60:63], 0 offset:364 ; 4-byte Folded Spill
	v_add_f64 v[4:5], v[8:9], v[4:5]
	v_fma_f64 v[8:9], v[149:150], s[20:21], -v[0:1]
	v_mul_f64 v[0:1], v[108:109], s[48:49]
	buffer_store_dword v0, off, s[60:63], 0 offset:320 ; 4-byte Folded Spill
	buffer_store_dword v1, off, s[60:63], 0 offset:324 ; 4-byte Folded Spill
	v_add_f64 v[6:7], v[8:9], v[6:7]
	v_fma_f64 v[8:9], v[98:99], s[22:23], v[0:1]
	;; [unrolled: 10-line block ×5, first 2 shown]
	v_mul_f64 v[0:1], v[253:254], s[40:41]
	buffer_store_dword v0, off, s[60:63], 0 offset:184 ; 4-byte Folded Spill
	buffer_store_dword v1, off, s[60:63], 0 offset:188 ; 4-byte Folded Spill
	v_add_f64 v[4:5], v[8:9], v[4:5]
	v_fma_f64 v[8:9], v[118:119], s[8:9], -v[0:1]
	v_mul_f64 v[1:2], v[131:132], s[46:47]
	v_add_f64 v[6:7], v[8:9], v[6:7]
	v_fma_f64 v[8:9], v[127:128], s[2:3], v[1:2]
	v_add_f64 v[3:4], v[8:9], v[4:5]
	v_mul_f64 v[8:9], v[147:148], s[46:47]
	buffer_store_dword v8, off, s[60:63], 0 offset:168 ; 4-byte Folded Spill
	buffer_store_dword v9, off, s[60:63], 0 offset:172 ; 4-byte Folded Spill
	v_fma_f64 v[8:9], v[141:142], s[2:3], -v[8:9]
	v_add_f64 v[5:6], v[8:9], v[6:7]
	buffer_store_dword v3, off, s[60:63], 0 offset:28 ; 4-byte Folded Spill
	buffer_store_dword v4, off, s[60:63], 0 offset:32 ; 4-byte Folded Spill
	;; [unrolled: 1-line block ×4, first 2 shown]
	v_mul_f64 v[3:4], v[96:97], s[28:29]
	buffer_store_dword v3, off, s[60:63], 0 offset:432 ; 4-byte Folded Spill
	buffer_store_dword v4, off, s[60:63], 0 offset:436 ; 4-byte Folded Spill
	v_fma_f64 v[8:9], v[179:180], s[8:9], v[203:204]
	v_add_f64 v[8:9], v[32:33], v[8:9]
	v_fma_f64 v[10:11], v[102:103], s[20:21], v[3:4]
	v_mul_f64 v[3:4], v[165:166], s[28:29]
	buffer_store_dword v3, off, s[60:63], 0 offset:464 ; 4-byte Folded Spill
	buffer_store_dword v4, off, s[60:63], 0 offset:468 ; 4-byte Folded Spill
	v_add_f64 v[8:9], v[10:11], v[8:9]
	v_fma_f64 v[10:11], v[185:186], s[8:9], -v[207:208]
	v_add_f64 v[10:11], v[34:35], v[10:11]
	v_fma_f64 v[12:13], v[106:107], s[20:21], -v[3:4]
	v_mul_f64 v[3:4], v[104:105], s[56:57]
	buffer_store_dword v3, off, s[60:63], 0 offset:448 ; 4-byte Folded Spill
	buffer_store_dword v4, off, s[60:63], 0 offset:452 ; 4-byte Folded Spill
	v_add_f64 v[10:11], v[12:13], v[10:11]
	v_fma_f64 v[12:13], v[145:146], s[22:23], v[3:4]
	v_mul_f64 v[3:4], v[193:194], s[56:57]
	buffer_store_dword v3, off, s[60:63], 0 offset:472 ; 4-byte Folded Spill
	buffer_store_dword v4, off, s[60:63], 0 offset:476 ; 4-byte Folded Spill
	v_add_f64 v[8:9], v[12:13], v[8:9]
	v_fma_f64 v[12:13], v[149:150], s[22:23], -v[3:4]
	v_mul_f64 v[3:4], v[108:109], s[52:53]
	buffer_store_dword v3, off, s[60:63], 0 offset:424 ; 4-byte Folded Spill
	buffer_store_dword v4, off, s[60:63], 0 offset:428 ; 4-byte Folded Spill
	v_add_f64 v[10:11], v[12:13], v[10:11]
	v_fma_f64 v[12:13], v[98:99], s[16:17], v[3:4]
	v_mul_f64 v[3:4], v[223:224], s[52:53]
	buffer_store_dword v3, off, s[60:63], 0 offset:480 ; 4-byte Folded Spill
	buffer_store_dword v4, off, s[60:63], 0 offset:484 ; 4-byte Folded Spill
	;; [unrolled: 10-line block ×6, first 2 shown]
	v_add_f64 v[8:9], v[12:13], v[8:9]
	v_fma_f64 v[12:13], v[141:142], s[24:25], -v[3:4]
	v_mul_f64 v[3:4], v[96:97], s[48:49]
	buffer_store_dword v3, off, s[60:63], 0 offset:496 ; 4-byte Folded Spill
	buffer_store_dword v4, off, s[60:63], 0 offset:500 ; 4-byte Folded Spill
	v_add_f64 v[10:11], v[12:13], v[10:11]
	v_fma_f64 v[12:13], v[179:180], s[10:11], v[217:218]
	v_add_f64 v[12:13], v[32:33], v[12:13]
	v_fma_f64 v[14:15], v[102:103], s[22:23], v[3:4]
	v_mul_f64 v[3:4], v[165:166], s[48:49]
	buffer_store_dword v3, off, s[60:63], 0 offset:512 ; 4-byte Folded Spill
	buffer_store_dword v4, off, s[60:63], 0 offset:516 ; 4-byte Folded Spill
	v_add_f64 v[12:13], v[14:15], v[12:13]
	v_fma_f64 v[14:15], v[185:186], s[10:11], -v[225:226]
	v_add_f64 v[14:15], v[34:35], v[14:15]
	v_fma_f64 v[16:17], v[106:107], s[22:23], -v[3:4]
	v_mul_f64 v[3:4], v[104:105], s[52:53]
	buffer_store_dword v3, off, s[60:63], 0 offset:504 ; 4-byte Folded Spill
	buffer_store_dword v4, off, s[60:63], 0 offset:508 ; 4-byte Folded Spill
	v_add_f64 v[14:15], v[16:17], v[14:15]
	v_fma_f64 v[16:17], v[145:146], s[16:17], v[3:4]
	v_mul_f64 v[3:4], v[193:194], s[52:53]
	buffer_store_dword v3, off, s[60:63], 0 offset:528 ; 4-byte Folded Spill
	buffer_store_dword v4, off, s[60:63], 0 offset:532 ; 4-byte Folded Spill
	v_add_f64 v[12:13], v[16:17], v[12:13]
	v_fma_f64 v[16:17], v[149:150], s[16:17], -v[3:4]
	v_mul_f64 v[3:4], v[108:109], s[46:47]
	buffer_store_dword v3, off, s[60:63], 0 offset:520 ; 4-byte Folded Spill
	buffer_store_dword v4, off, s[60:63], 0 offset:524 ; 4-byte Folded Spill
	v_add_f64 v[14:15], v[16:17], v[14:15]
	v_fma_f64 v[16:17], v[98:99], s[2:3], v[3:4]
	v_mul_f64 v[3:4], v[223:224], s[46:47]
	buffer_store_dword v3, off, s[60:63], 0 offset:544 ; 4-byte Folded Spill
	buffer_store_dword v4, off, s[60:63], 0 offset:548 ; 4-byte Folded Spill
	;; [unrolled: 10-line block ×6, first 2 shown]
	v_add_f64 v[12:13], v[16:17], v[12:13]
	v_fma_f64 v[16:17], v[141:142], s[6:7], -v[3:4]
	v_mul_f64 v[3:4], v[163:164], s[42:43]
	buffer_store_dword v3, off, s[60:63], 0 offset:440 ; 4-byte Folded Spill
	buffer_store_dword v4, off, s[60:63], 0 offset:444 ; 4-byte Folded Spill
	v_add_f64 v[14:15], v[16:17], v[14:15]
	v_fma_f64 v[16:17], v[179:180], s[16:17], v[249:250]
	v_add_f64 v[16:17], v[32:33], v[16:17]
	v_add_f64 v[16:17], v[18:19], v[16:17]
	v_fma_f64 v[18:19], v[185:186], s[16:17], -v[100:101]
	v_add_f64 v[18:19], v[34:35], v[18:19]
	v_add_f64 v[18:19], v[20:21], v[18:19]
	v_fma_f64 v[20:21], v[145:146], s[6:7], v[187:188]
	v_add_f64 v[16:17], v[20:21], v[16:17]
	v_fma_f64 v[20:21], v[149:150], s[6:7], -v[195:196]
	v_add_f64 v[18:19], v[20:21], v[18:19]
	v_fma_f64 v[20:21], v[98:99], s[8:9], v[191:192]
	v_add_f64 v[16:17], v[20:21], v[16:17]
	v_fma_f64 v[20:21], v[169:170], s[8:9], -v[201:202]
	;; [unrolled: 4-line block ×3, first 2 shown]
	v_add_f64 v[18:19], v[20:21], v[18:19]
	v_fma_f64 v[20:21], v[123:124], s[10:11], v[3:4]
	v_mul_f64 v[3:4], v[247:248], s[42:43]
	buffer_store_dword v3, off, s[60:63], 0 offset:456 ; 4-byte Folded Spill
	buffer_store_dword v4, off, s[60:63], 0 offset:460 ; 4-byte Folded Spill
	v_add_f64 v[16:17], v[20:21], v[16:17]
	v_fma_f64 v[20:21], v[137:138], s[10:11], -v[3:4]
	v_mul_f64 v[3:4], v[116:117], s[26:27]
	buffer_store_dword v3, off, s[60:63], 0 offset:408 ; 4-byte Folded Spill
	buffer_store_dword v4, off, s[60:63], 0 offset:412 ; 4-byte Folded Spill
	v_add_f64 v[18:19], v[20:21], v[18:19]
	v_fma_f64 v[20:21], v[110:111], s[2:3], v[3:4]
	v_mul_f64 v[3:4], v[253:254], s[26:27]
	buffer_store_dword v3, off, s[60:63], 0 offset:416 ; 4-byte Folded Spill
	buffer_store_dword v4, off, s[60:63], 0 offset:420 ; 4-byte Folded Spill
	v_add_f64 v[16:17], v[20:21], v[16:17]
	v_fma_f64 v[20:21], v[118:119], s[2:3], -v[3:4]
	v_mul_f64 v[3:4], v[131:132], s[28:29]
	buffer_store_dword v3, off, s[60:63], 0 offset:392 ; 4-byte Folded Spill
	buffer_store_dword v4, off, s[60:63], 0 offset:396 ; 4-byte Folded Spill
	v_add_f64 v[18:19], v[20:21], v[18:19]
	v_fma_f64 v[20:21], v[127:128], s[20:21], v[3:4]
	v_mul_f64 v[3:4], v[147:148], s[28:29]
	buffer_store_dword v3, off, s[60:63], 0 offset:400 ; 4-byte Folded Spill
	buffer_store_dword v4, off, s[60:63], 0 offset:404 ; 4-byte Folded Spill
	v_add_f64 v[16:17], v[20:21], v[16:17]
	s_waitcnt lgkmcnt(0)
	s_waitcnt_vscnt null, 0x0
	s_barrier
	buffer_gl0_inv
	buffer_load_dword v0, off, s[60:63], 0  ; 4-byte Folded Reload
	v_fma_f64 v[20:21], v[141:142], s[20:21], -v[3:4]
	s_waitcnt vmcnt(0)
	v_mul_lo_u16 v0, v0, 17
	buffer_store_dword v0, off, s[60:63], 0 offset:44 ; 4-byte Folded Spill
	v_add_f64 v[18:19], v[20:21], v[18:19]
	v_fma_f64 v[20:21], v[179:180], s[20:21], v[159:160]
	v_add_f64 v[20:21], v[32:33], v[20:21]
	v_add_f64 v[20:21], v[22:23], v[20:21]
	v_fma_f64 v[22:23], v[185:186], s[20:21], -v[171:172]
	v_add_f64 v[22:23], v[34:35], v[22:23]
	v_add_f64 v[22:23], v[24:25], v[22:23]
	v_fma_f64 v[24:25], v[145:146], s[2:3], v[211:212]
	v_add_f64 v[20:21], v[24:25], v[20:21]
	v_fma_f64 v[24:25], v[149:150], s[2:3], -v[221:222]
	v_add_f64 v[22:23], v[24:25], v[22:23]
	v_fma_f64 v[24:25], v[98:99], s[24:25], v[213:214]
	v_add_f64 v[20:21], v[24:25], v[20:21]
	v_fma_f64 v[24:25], v[169:170], s[24:25], -v[229:230]
	;; [unrolled: 4-line block ×6, first 2 shown]
	v_add_f64 v[22:23], v[24:25], v[22:23]
	v_fma_f64 v[24:25], v[179:180], s[24:25], v[175:176]
	v_add_f64 v[24:25], v[32:33], v[24:25]
	v_add_f64 v[24:25], v[26:27], v[24:25]
	v_fma_f64 v[26:27], v[185:186], s[24:25], -v[177:178]
	v_add_f64 v[26:27], v[34:35], v[26:27]
	v_add_f64 v[26:27], v[112:113], v[26:27]
	v_fma_f64 v[112:113], v[145:146], s[10:11], v[251:252]
	v_add_f64 v[24:25], v[112:113], v[24:25]
	v_fma_f64 v[112:113], v[149:150], s[10:11], -v[129:130]
	v_add_f64 v[26:27], v[112:113], v[26:27]
	v_mul_f64 v[112:113], v[108:109], s[54:55]
	v_fma_f64 v[125:126], v[98:99], s[20:21], v[112:113]
	v_add_f64 v[24:25], v[125:126], v[24:25]
	v_fma_f64 v[125:126], v[169:170], s[20:21], -v[139:140]
	v_add_f64 v[26:27], v[125:126], v[26:27]
	v_mul_f64 v[125:126], v[161:162], s[26:27]
	;; [unrolled: 5-line block ×5, first 2 shown]
	v_fma_f64 v[173:174], v[127:128], s[16:17], v[155:156]
	v_add_f64 v[4:5], v[173:174], v[24:25]
	v_mul_f64 v[173:174], v[147:148], s[18:19]
	v_fma_f64 v[181:182], v[141:142], s[16:17], -v[173:174]
	v_add_f64 v[6:7], v[181:182], v[26:27]
	s_and_saveexec_b32 s33, vcc_lo
	s_cbranch_execz .LBB0_7
; %bb.6:
	s_clause 0x1
	buffer_load_dword v24, off, s[60:63], 0 offset:568
	buffer_load_dword v25, off, s[60:63], 0 offset:572
	v_add_f64 v[48:49], v[32:33], v[48:49]
	v_add_f64 v[50:51], v[34:35], v[50:51]
	v_mul_f64 v[181:182], v[149:150], s[2:3]
	v_mul_f64 v[96:97], v[96:97], s[46:47]
	;; [unrolled: 1-line block ×3, first 2 shown]
	v_add_f64 v[48:49], v[48:49], v[52:53]
	v_add_f64 v[50:51], v[50:51], v[54:55]
	v_mul_f64 v[52:53], v[185:186], s[20:21]
	v_add_f64 v[181:182], v[221:222], v[181:182]
	v_mul_f64 v[221:222], v[106:107], s[22:23]
	v_mul_f64 v[54:55], v[179:180], s[20:21]
	v_add_f64 v[48:49], v[48:49], v[56:57]
	v_add_f64 v[50:51], v[50:51], v[58:59]
	v_mul_f64 v[56:57], v[185:186], s[16:17]
	v_mul_f64 v[58:59], v[179:180], s[16:17]
	v_add_f64 v[52:53], v[171:172], v[52:53]
	v_mul_f64 v[171:172], v[141:142], s[8:9]
	v_add_f64 v[54:55], v[54:55], -v[159:160]
	v_mul_f64 v[159:160], v[118:119], s[6:7]
	v_add_f64 v[48:49], v[48:49], v[60:61]
	v_add_f64 v[50:51], v[50:51], v[62:63]
	v_mul_f64 v[60:61], v[185:186], s[10:11]
	v_mul_f64 v[62:63], v[179:180], s[10:11]
	v_add_f64 v[56:57], v[100:101], v[56:57]
	v_add_f64 v[171:172], v[241:242], v[171:172]
	v_mul_f64 v[241:242], v[106:107], s[10:11]
	v_mul_f64 v[100:101], v[106:107], s[2:3]
	v_add_f64 v[159:160], v[167:168], v[159:160]
	v_mul_f64 v[167:168], v[102:103], s[8:9]
	v_add_f64 v[58:59], v[58:59], -v[249:250]
	v_mul_f64 v[249:250], v[149:150], s[20:21]
	v_add_f64 v[52:53], v[34:35], v[52:53]
	v_add_f64 v[54:55], v[32:33], v[54:55]
	;; [unrolled: 1-line block ×4, first 2 shown]
	v_mul_f64 v[64:65], v[185:186], s[8:9]
	v_add_f64 v[62:63], v[62:63], -v[217:218]
	v_mul_f64 v[217:218], v[169:170], s[2:3]
	v_add_f64 v[60:61], v[225:226], v[60:61]
	v_mul_f64 v[225:226], v[102:103], s[22:23]
	v_mul_f64 v[66:67], v[179:180], s[8:9]
	v_add_f64 v[56:57], v[34:35], v[56:57]
	v_add_f64 v[167:168], v[167:168], -v[245:246]
	v_mul_f64 v[245:246], v[145:146], s[22:23]
	v_add_f64 v[58:59], v[32:33], v[58:59]
	v_add_f64 v[48:49], v[48:49], v[68:69]
	v_mul_f64 v[68:69], v[185:186], s[6:7]
	v_add_f64 v[50:51], v[50:51], v[70:71]
	v_mul_f64 v[70:71], v[179:180], s[6:7]
	;; [unrolled: 2-line block ×3, first 2 shown]
	v_add_f64 v[60:61], v[34:35], v[60:61]
	v_add_f64 v[66:67], v[66:67], -v[203:204]
	v_mul_f64 v[203:204], v[123:124], s[6:7]
	v_add_f64 v[62:63], v[32:33], v[62:63]
	v_add_f64 v[48:49], v[48:49], v[72:73]
	v_mul_f64 v[72:73], v[185:186], s[2:3]
	v_add_f64 v[50:51], v[50:51], v[74:75]
	v_mul_f64 v[74:75], v[114:115], s[48:49]
	v_fma_f64 v[114:115], v[165:166], s[26:27], v[100:101]
	v_add_f64 v[207:208], v[207:208], -v[219:220]
	v_mul_f64 v[219:220], v[149:150], s[16:17]
	v_fma_f64 v[100:101], v[165:166], s[46:47], v[100:101]
	v_add_f64 v[203:204], v[203:204], -v[227:228]
	v_mul_f64 v[227:228], v[145:146], s[16:17]
	v_mul_f64 v[165:166], v[137:138], s[22:23]
	v_add_f64 v[64:65], v[34:35], v[64:65]
	v_add_f64 v[66:67], v[32:33], v[66:67]
	;; [unrolled: 1-line block ×3, first 2 shown]
	v_mul_f64 v[80:81], v[137:138], s[8:9]
	v_add_f64 v[50:51], v[50:51], v[82:83]
	v_add_f64 v[157:158], v[157:158], v[165:166]
	v_mul_f64 v[165:166], v[151:152], s[2:3]
	v_add_f64 v[48:49], v[48:49], v[84:85]
	v_mul_f64 v[84:85], v[151:152], s[20:21]
	v_add_f64 v[50:51], v[50:51], v[86:87]
	v_fma_f64 v[82:83], v[247:248], s[36:37], v[80:81]
	v_fma_f64 v[80:81], v[247:248], s[40:41], v[80:81]
	;; [unrolled: 1-line block ×3, first 2 shown]
	v_fma_f64 v[96:97], v[102:103], s[2:3], -v[96:97]
	v_add_f64 v[153:154], v[153:154], v[165:166]
	v_mul_f64 v[165:166], v[169:170], s[20:21]
	v_add_f64 v[48:49], v[48:49], v[88:89]
	v_mul_f64 v[88:89], v[169:170], s[6:7]
	v_add_f64 v[50:51], v[50:51], v[90:91]
	v_fma_f64 v[86:87], v[243:244], s[54:55], v[84:85]
	v_fma_f64 v[84:85], v[243:244], s[28:29], v[84:85]
	v_mul_f64 v[243:244], v[102:103], s[10:11]
	v_add_f64 v[139:140], v[139:140], v[165:166]
	v_mul_f64 v[165:166], v[149:150], s[10:11]
	v_add_f64 v[48:49], v[48:49], v[92:93]
	v_fma_f64 v[90:91], v[223:224], s[30:31], v[88:89]
	v_add_f64 v[50:51], v[50:51], v[94:95]
	v_fma_f64 v[88:89], v[223:224], s[44:45], v[88:89]
	v_mul_f64 v[223:224], v[133:134], s[8:9]
	v_mul_f64 v[92:93], v[149:150], s[24:25]
	v_add_f64 v[129:130], v[129:130], v[165:166]
	v_mul_f64 v[165:166], v[106:107], s[8:9]
	v_add_f64 v[48:49], v[48:49], v[76:77]
	v_fma_f64 v[76:77], v[179:180], s[22:23], v[74:75]
	v_add_f64 v[50:51], v[50:51], v[78:79]
	v_mul_f64 v[78:79], v[179:180], s[2:3]
	v_fma_f64 v[74:75], v[179:180], s[22:23], -v[74:75]
	v_fma_f64 v[94:95], v[193:194], s[50:51], v[92:93]
	v_fma_f64 v[92:93], v[193:194], s[34:35], v[92:93]
	v_mul_f64 v[193:194], v[127:128], s[8:9]
	v_add_f64 v[121:122], v[121:122], v[165:166]
	v_mul_f64 v[165:166], v[127:128], s[16:17]
	v_add_f64 v[44:45], v[48:49], v[44:45]
	;; [unrolled: 2-line block ×3, first 2 shown]
	v_mul_f64 v[50:51], v[179:180], s[24:25]
	v_mul_f64 v[179:180], v[169:170], s[24:25]
	v_add_f64 v[76:77], v[32:33], v[76:77]
	v_add_f64 v[74:75], v[32:33], v[74:75]
	v_add_f64 v[193:194], v[193:194], -v[235:236]
	v_mul_f64 v[235:236], v[169:170], s[16:17]
	v_add_f64 v[155:156], v[165:166], -v[155:156]
	v_mul_f64 v[165:166], v[110:111], s[6:7]
	v_add_f64 v[40:41], v[44:45], v[40:41]
	v_mul_f64 v[44:45], v[185:186], s[22:23]
	v_add_f64 v[42:43], v[46:47], v[42:43]
	;; [unrolled: 2-line block ×4, first 2 shown]
	v_mul_f64 v[177:178], v[151:152], s[10:11]
	v_add_f64 v[50:51], v[50:51], -v[175:176]
	v_mul_f64 v[175:176], v[137:138], s[6:7]
	v_add_f64 v[76:77], v[247:248], v[76:77]
	v_add_f64 v[74:75], v[96:97], v[74:75]
	v_mul_f64 v[96:97], v[137:138], s[20:21]
	v_add_f64 v[143:144], v[165:166], -v[143:144]
	v_mul_f64 v[165:166], v[123:124], s[22:23]
	v_fma_f64 v[46:47], v[199:200], s[56:57], v[44:45]
	v_fma_f64 v[44:45], v[199:200], s[48:49], v[44:45]
	v_add_f64 v[185:186], v[215:216], v[185:186]
	v_mul_f64 v[215:216], v[98:99], s[24:25]
	v_mul_f64 v[199:200], v[110:111], s[22:23]
	v_add_f64 v[48:49], v[34:35], v[48:49]
	v_add_f64 v[177:178], v[233:234], v[177:178]
	v_mul_f64 v[233:234], v[149:150], s[22:23]
	v_add_f64 v[175:176], v[237:238], v[175:176]
	v_mul_f64 v[237:238], v[151:152], s[6:7]
	s_waitcnt vmcnt(0)
	v_add_f64 v[68:69], v[24:25], v[68:69]
	s_clause 0x1
	buffer_load_dword v24, off, s[60:63], 0 offset:560
	buffer_load_dword v25, off, s[60:63], 0 offset:564
	v_add_f64 v[50:51], v[32:33], v[50:51]
	v_add_f64 v[135:136], v[165:166], -v[135:136]
	v_mul_f64 v[165:166], v[133:134], s[2:3]
	v_add_f64 v[46:47], v[34:35], v[46:47]
	v_add_f64 v[44:45], v[34:35], v[44:45]
	;; [unrolled: 1-line block ×3, first 2 shown]
	v_add_f64 v[213:214], v[215:216], -v[213:214]
	v_mul_f64 v[215:216], v[145:146], s[2:3]
	v_add_f64 v[199:200], v[199:200], -v[231:232]
	v_mul_f64 v[231:232], v[106:107], s[20:21]
	v_add_f64 v[48:49], v[121:122], v[48:49]
	v_add_f64 v[68:69], v[34:35], v[68:69]
	;; [unrolled: 1-line block ×3, first 2 shown]
	v_add_f64 v[125:126], v[165:166], -v[125:126]
	v_mul_f64 v[165:166], v[98:99], s[20:21]
	v_add_f64 v[46:47], v[114:115], v[46:47]
	v_mul_f64 v[114:115], v[98:99], s[22:23]
	v_add_f64 v[44:45], v[100:101], v[44:45]
	v_add_f64 v[52:53], v[181:182], v[52:53]
	v_add_f64 v[211:212], v[215:216], -v[211:212]
	v_mul_f64 v[215:216], v[102:103], s[16:17]
	v_mul_f64 v[100:101], v[118:119], s[24:25]
	v_add_f64 v[48:49], v[129:130], v[48:49]
	v_add_f64 v[112:113], v[165:166], -v[112:113]
	v_mul_f64 v[165:166], v[145:146], s[10:11]
	v_add_f64 v[46:47], v[94:95], v[46:47]
	v_mul_f64 v[94:95], v[169:170], s[10:11]
	v_add_f64 v[44:45], v[92:93], v[44:45]
	v_add_f64 v[52:53], v[179:180], v[52:53]
	v_add_f64 v[209:210], v[215:216], -v[209:210]
	v_mul_f64 v[215:216], v[151:152], s[22:23]
	v_add_f64 v[48:49], v[139:140], v[48:49]
	v_add_f64 v[165:166], v[165:166], -v[251:252]
	v_mul_f64 v[251:252], v[145:146], s[20:21]
	v_add_f64 v[46:47], v[90:91], v[46:47]
	v_mul_f64 v[90:91], v[108:109], s[44:45]
	v_add_f64 v[44:45], v[88:89], v[44:45]
	v_add_f64 v[52:53], v[177:178], v[52:53]
	v_mul_f64 v[108:109], v[127:128], s[22:23]
	v_add_f64 v[54:55], v[209:210], v[54:55]
	;; [unrolled: 3-line block ×3, first 2 shown]
	v_add_f64 v[50:51], v[165:166], v[50:51]
	v_add_f64 v[46:47], v[86:87], v[46:47]
	v_fma_f64 v[92:93], v[98:99], s[6:7], v[90:91]
	v_add_f64 v[44:45], v[84:85], v[44:45]
	v_fma_f64 v[88:89], v[98:99], s[6:7], -v[90:91]
	v_mul_f64 v[86:87], v[161:162], s[28:29]
	v_mul_f64 v[90:91], v[137:138], s[2:3]
	v_add_f64 v[54:55], v[211:212], v[54:55]
	v_add_f64 v[201:202], v[201:202], v[215:216]
	v_mul_f64 v[215:216], v[149:150], s[6:7]
	v_mul_f64 v[149:150], v[149:150], s[8:9]
	v_add_f64 v[52:53], v[175:176], v[52:53]
	v_add_f64 v[48:49], v[157:158], v[48:49]
	;; [unrolled: 1-line block ×4, first 2 shown]
	v_mul_f64 v[82:83], v[163:164], s[40:41]
	v_add_f64 v[44:45], v[80:81], v[44:45]
	v_fma_f64 v[84:85], v[133:134], s[20:21], -v[86:87]
	v_add_f64 v[54:55], v[213:214], v[54:55]
	v_add_f64 v[195:196], v[195:196], v[215:216]
	v_mul_f64 v[215:216], v[106:107], s[24:25]
	v_mul_f64 v[106:107], v[106:107], s[6:7]
	v_add_f64 v[48:49], v[159:160], v[48:49]
	v_add_f64 v[50:51], v[125:126], v[50:51]
	v_fma_f64 v[80:81], v[123:124], s[8:9], -v[82:83]
	v_add_f64 v[54:55], v[207:208], v[54:55]
	v_add_f64 v[189:190], v[189:190], v[215:216]
	v_mul_f64 v[215:216], v[133:134], s[22:23]
	v_add_f64 v[50:51], v[135:136], v[50:51]
	v_add_f64 v[54:55], v[203:204], v[54:55]
	;; [unrolled: 1-line block ×3, first 2 shown]
	v_add_f64 v[197:198], v[215:216], -v[197:198]
	v_mul_f64 v[215:216], v[98:99], s[8:9]
	v_add_f64 v[56:57], v[195:196], v[56:57]
	v_add_f64 v[191:192], v[215:216], -v[191:192]
	v_mul_f64 v[215:216], v[145:146], s[6:7]
	v_add_f64 v[56:57], v[201:202], v[56:57]
	;; [unrolled: 3-line block ×4, first 2 shown]
	v_add_f64 v[58:59], v[187:188], v[58:59]
	v_add_f64 v[58:59], v[191:192], v[58:59]
	s_waitcnt vmcnt(0)
	v_add_f64 v[70:71], v[70:71], -v[24:25]
	s_clause 0x1
	buffer_load_dword v24, off, s[60:63], 0 offset:216
	buffer_load_dword v25, off, s[60:63], 0 offset:220
	v_add_f64 v[58:59], v[197:198], v[58:59]
	v_add_f64 v[70:71], v[32:33], v[70:71]
	s_waitcnt vmcnt(0)
	v_add_f64 v[72:73], v[24:25], v[72:73]
	s_clause 0x1
	buffer_load_dword v24, off, s[60:63], 0 offset:192
	buffer_load_dword v25, off, s[60:63], 0 offset:196
	v_add_f64 v[34:35], v[34:35], v[72:73]
	v_mul_f64 v[72:73], v[118:119], s[16:17]
	s_waitcnt vmcnt(0)
	v_add_f64 v[78:79], v[78:79], -v[24:25]
	v_add_f64 v[24:25], v[42:43], v[38:39]
	v_add_f64 v[42:43], v[40:41], v[36:37]
	v_mul_f64 v[36:37], v[141:142], s[10:11]
	buffer_store_dword v24, off, s[60:63], 0 offset:192 ; 4-byte Folded Spill
	buffer_store_dword v25, off, s[60:63], 0 offset:196 ; 4-byte Folded Spill
	s_clause 0x1
	buffer_load_dword v24, off, s[60:63], 0 offset:552
	buffer_load_dword v25, off, s[60:63], 0 offset:556
	v_fma_f64 v[40:41], v[147:148], s[38:39], v[36:37]
	v_fma_f64 v[26:27], v[147:148], s[42:43], v[36:37]
	v_mul_f64 v[147:148], v[141:142], s[16:17]
	v_mov_b32_e32 v39, v7
	v_mov_b32_e32 v38, v6
	;; [unrolled: 1-line block ×6, first 2 shown]
	v_add_f64 v[32:33], v[32:33], v[78:79]
	v_fma_f64 v[78:79], v[253:254], s[52:53], v[72:73]
	v_fma_f64 v[72:73], v[253:254], s[18:19], v[72:73]
	;; [unrolled: 1-line block ×3, first 2 shown]
	v_fma_f64 v[104:105], v[145:146], s[24:25], -v[104:105]
	v_mul_f64 v[145:146], v[145:146], s[8:9]
	v_add_f64 v[147:148], v[173:174], v[147:148]
	v_mul_f64 v[173:174], v[118:119], s[22:23]
	v_add_f64 v[46:47], v[78:79], v[46:47]
	v_add_f64 v[44:45], v[72:73], v[44:45]
	v_mul_f64 v[72:73], v[98:99], s[10:11]
	v_add_f64 v[76:77], v[253:254], v[76:77]
	;; [unrolled: 3-line block ×3, first 2 shown]
	v_mul_f64 v[239:240], v[102:103], s[20:21]
	v_mul_f64 v[102:103], v[102:103], s[6:7]
	v_add_f64 v[76:77], v[92:93], v[76:77]
	v_add_f64 v[74:75], v[88:89], v[74:75]
	v_fma_f64 v[88:89], v[133:134], s[20:21], v[86:87]
	v_mul_f64 v[86:87], v[137:138], s[24:25]
	v_mul_f64 v[92:93], v[123:124], s[2:3]
	v_add_f64 v[52:53], v[173:174], v[52:53]
	v_add_f64 v[74:75], v[84:85], v[74:75]
	;; [unrolled: 1-line block ×3, first 2 shown]
	v_fma_f64 v[84:85], v[123:124], s[8:9], v[82:83]
	v_mul_f64 v[88:89], v[123:124], s[24:25]
	v_add_f64 v[74:75], v[80:81], v[74:75]
	v_mul_f64 v[80:81], v[151:152], s[16:17]
	v_add_f64 v[76:77], v[84:85], v[76:77]
	s_waitcnt vmcnt(0)
	v_add_f64 v[215:216], v[24:25], v[215:216]
	s_clause 0x1
	buffer_load_dword v24, off, s[60:63], 0 offset:544
	buffer_load_dword v25, off, s[60:63], 0 offset:548
	s_waitcnt vmcnt(0)
	v_add_f64 v[217:218], v[24:25], v[217:218]
	s_clause 0x1
	buffer_load_dword v24, off, s[60:63], 0 offset:528
	buffer_load_dword v25, off, s[60:63], 0 offset:532
	;; [unrolled: 5-line block ×4, first 2 shown]
	v_add_f64 v[60:61], v[221:222], v[60:61]
	v_add_f64 v[60:61], v[219:220], v[60:61]
	;; [unrolled: 1-line block ×4, first 2 shown]
	s_waitcnt vmcnt(0)
	v_add_f64 v[223:224], v[223:224], -v[24:25]
	s_clause 0x1
	buffer_load_dword v24, off, s[60:63], 0 offset:496
	buffer_load_dword v25, off, s[60:63], 0 offset:500
	s_waitcnt vmcnt(0)
	v_add_f64 v[225:226], v[225:226], -v[24:25]
	s_clause 0x1
	buffer_load_dword v24, off, s[60:63], 0 offset:504
	buffer_load_dword v25, off, s[60:63], 0 offset:508
	v_add_f64 v[62:63], v[225:226], v[62:63]
	s_waitcnt vmcnt(0)
	v_add_f64 v[227:228], v[227:228], -v[24:25]
	s_clause 0x1
	buffer_load_dword v24, off, s[60:63], 0 offset:520
	buffer_load_dword v25, off, s[60:63], 0 offset:524
	v_add_f64 v[62:63], v[227:228], v[62:63]
	;; [unrolled: 6-line block ×3, first 2 shown]
	v_add_f64 v[62:63], v[223:224], v[62:63]
	s_waitcnt vmcnt(0)
	v_add_f64 v[231:232], v[24:25], v[231:232]
	s_clause 0x1
	buffer_load_dword v24, off, s[60:63], 0 offset:472
	buffer_load_dword v25, off, s[60:63], 0 offset:476
	v_add_f64 v[64:65], v[231:232], v[64:65]
	s_waitcnt vmcnt(0)
	v_add_f64 v[233:234], v[24:25], v[233:234]
	s_clause 0x1
	buffer_load_dword v24, off, s[60:63], 0 offset:480
	buffer_load_dword v25, off, s[60:63], 0 offset:484
	;; [unrolled: 6-line block ×4, first 2 shown]
	v_add_f64 v[64:65], v[237:238], v[64:65]
	s_waitcnt vmcnt(0)
	v_add_f64 v[239:240], v[239:240], -v[24:25]
	s_clause 0x1
	buffer_load_dword v24, off, s[60:63], 0 offset:376
	buffer_load_dword v25, off, s[60:63], 0 offset:380
	v_add_f64 v[66:67], v[239:240], v[66:67]
	s_waitcnt vmcnt(0)
	v_add_f64 v[241:242], v[24:25], v[241:242]
	s_clause 0x3
	buffer_load_dword v24, off, s[60:63], 0 offset:352
	buffer_load_dword v25, off, s[60:63], 0 offset:356
	;; [unrolled: 1-line block ×4, first 2 shown]
	v_add_f64 v[68:69], v[241:242], v[68:69]
	s_waitcnt vmcnt(2)
	v_add_f64 v[243:244], v[243:244], -v[24:25]
	s_waitcnt vmcnt(0)
	v_add_f64 v[106:107], v[0:1], v[106:107]
	s_clause 0x1
	buffer_load_dword v0, off, s[60:63], 0 offset:448
	buffer_load_dword v1, off, s[60:63], 0 offset:452
	v_mov_b32_e32 v25, v23
	v_mov_b32_e32 v24, v22
	v_mov_b32_e32 v23, v21
	v_mov_b32_e32 v22, v20
	v_mov_b32_e32 v21, v19
	v_mov_b32_e32 v20, v18
	v_mov_b32_e32 v19, v17
	v_mov_b32_e32 v18, v16
	v_mov_b32_e32 v17, v15
	v_mov_b32_e32 v16, v14
	v_mov_b32_e32 v15, v13
	v_mov_b32_e32 v14, v12
	v_mov_b32_e32 v13, v11
	v_mov_b32_e32 v12, v10
	v_mov_b32_e32 v11, v9
	v_mov_b32_e32 v10, v8
	v_add_f64 v[70:71], v[243:244], v[70:71]
	v_add_f64 v[34:35], v[106:107], v[34:35]
	v_mov_b32_e32 v8, v10
	v_mov_b32_e32 v9, v11
	;; [unrolled: 1-line block ×16, first 2 shown]
	s_waitcnt vmcnt(0)
	v_add_f64 v[245:246], v[245:246], -v[0:1]
	s_clause 0x1
	buffer_load_dword v0, off, s[60:63], 0 offset:120
	buffer_load_dword v1, off, s[60:63], 0 offset:124
	v_add_f64 v[66:67], v[245:246], v[66:67]
	s_waitcnt vmcnt(0)
	v_add_f64 v[102:103], v[102:103], -v[0:1]
	s_clause 0x1
	buffer_load_dword v0, off, s[60:63], 0 offset:360
	buffer_load_dword v1, off, s[60:63], 0 offset:364
	v_add_f64 v[32:33], v[102:103], v[32:33]
	s_waitcnt vmcnt(0)
	v_add_f64 v[249:250], v[0:1], v[249:250]
	s_clause 0x1
	buffer_load_dword v0, off, s[60:63], 0 offset:344
	buffer_load_dword v1, off, s[60:63], 0 offset:348
	v_add_f64 v[68:69], v[249:250], v[68:69]
	s_waitcnt vmcnt(0)
	v_add_f64 v[251:252], v[251:252], -v[0:1]
	s_clause 0x1
	buffer_load_dword v0, off, s[60:63], 0 offset:152
	buffer_load_dword v1, off, s[60:63], 0 offset:156
	v_add_f64 v[70:71], v[251:252], v[70:71]
	s_waitcnt vmcnt(0)
	v_add_f64 v[149:150], v[0:1], v[149:150]
	s_clause 0x5
	buffer_load_dword v0, off, s[60:63], 0 offset:136
	buffer_load_dword v1, off, s[60:63], 0 offset:140
	;; [unrolled: 1-line block ×6, first 2 shown]
	v_add_f64 v[34:35], v[149:150], v[34:35]
	s_waitcnt vmcnt(4)
	v_add_f64 v[145:146], v[145:146], -v[0:1]
	v_mul_f64 v[0:1], v[98:99], s[16:17]
	v_add_f64 v[32:33], v[145:146], v[32:33]
	s_waitcnt vmcnt(2)
	v_add_f64 v[0:1], v[0:1], -v[2:3]
	v_mul_f64 v[2:3], v[169:170], s[22:23]
	v_add_f64 v[0:1], v[0:1], v[66:67]
	s_waitcnt vmcnt(0)
	v_add_f64 v[2:3], v[6:7], v[2:3]
	s_clause 0x1
	buffer_load_dword v6, off, s[60:63], 0 offset:320
	buffer_load_dword v7, off, s[60:63], 0 offset:324
	v_mul_f64 v[66:67], v[151:152], s[24:25]
	v_add_f64 v[2:3], v[2:3], v[68:69]
	v_mul_f64 v[68:69], v[133:134], s[24:25]
	s_waitcnt vmcnt(0)
	v_add_f64 v[114:115], v[114:115], -v[6:7]
	s_clause 0x3
	buffer_load_dword v6, off, s[60:63], 0 offset:160
	buffer_load_dword v7, off, s[60:63], 0 offset:164
	;; [unrolled: 1-line block ×4, first 2 shown]
	v_add_f64 v[70:71], v[114:115], v[70:71]
	s_waitcnt vmcnt(2)
	v_add_f64 v[94:95], v[6:7], v[94:95]
	s_clause 0x1
	buffer_load_dword v6, off, s[60:63], 0 offset:304
	buffer_load_dword v7, off, s[60:63], 0 offset:308
	s_waitcnt vmcnt(2)
	v_add_f64 v[72:73], v[72:73], -v[78:79]
	v_mul_f64 v[78:79], v[133:134], s[6:7]
	v_add_f64 v[34:35], v[94:95], v[34:35]
	v_mul_f64 v[94:95], v[137:138], s[16:17]
	v_add_f64 v[32:33], v[72:73], v[32:33]
	v_mul_f64 v[72:73], v[137:138], s[10:11]
	s_waitcnt vmcnt(0)
	v_add_f64 v[78:79], v[78:79], -v[6:7]
	s_clause 0x1
	buffer_load_dword v6, off, s[60:63], 0 offset:248
	buffer_load_dword v7, off, s[60:63], 0 offset:252
	v_add_f64 v[0:1], v[78:79], v[0:1]
	v_mul_f64 v[78:79], v[118:119], s[20:21]
	s_waitcnt vmcnt(0)
	v_add_f64 v[66:67], v[6:7], v[66:67]
	s_clause 0x5
	buffer_load_dword v6, off, s[60:63], 0 offset:240
	buffer_load_dword v7, off, s[60:63], 0 offset:244
	;; [unrolled: 1-line block ×6, first 2 shown]
	v_add_f64 v[2:3], v[66:67], v[2:3]
	v_mul_f64 v[66:67], v[123:124], s[16:17]
	s_waitcnt vmcnt(4)
	v_add_f64 v[68:69], v[68:69], -v[6:7]
	s_clause 0x1
	buffer_load_dword v6, off, s[60:63], 0 offset:456
	buffer_load_dword v7, off, s[60:63], 0 offset:460
	s_waitcnt vmcnt(4)
	v_add_f64 v[80:81], v[82:83], v[80:81]
	v_mul_f64 v[82:83], v[133:134], s[16:17]
	v_add_f64 v[68:69], v[68:69], v[70:71]
	v_mul_f64 v[70:71], v[118:119], s[2:3]
	v_add_f64 v[34:35], v[80:81], v[34:35]
	s_waitcnt vmcnt(2)
	v_add_f64 v[82:83], v[82:83], -v[84:85]
	v_mul_f64 v[84:85], v[123:124], s[10:11]
	v_mul_f64 v[80:81], v[123:124], s[20:21]
	v_add_f64 v[32:33], v[82:83], v[32:33]
	v_mul_f64 v[82:83], v[110:111], s[20:21]
	s_waitcnt vmcnt(0)
	v_add_f64 v[72:73], v[6:7], v[72:73]
	s_clause 0x1
	buffer_load_dword v6, off, s[60:63], 0 offset:440
	buffer_load_dword v7, off, s[60:63], 0 offset:444
	v_add_f64 v[56:57], v[72:73], v[56:57]
	v_mul_f64 v[72:73], v[110:111], s[2:3]
	s_waitcnt vmcnt(0)
	v_add_f64 v[84:85], v[84:85], -v[6:7]
	s_clause 0x1
	buffer_load_dword v6, off, s[60:63], 0 offset:384
	buffer_load_dword v7, off, s[60:63], 0 offset:388
	v_add_f64 v[58:59], v[84:85], v[58:59]
	v_mul_f64 v[84:85], v[141:142], s[24:25]
	s_waitcnt vmcnt(0)
	v_add_f64 v[86:87], v[6:7], v[86:87]
	s_clause 0x1
	buffer_load_dword v6, off, s[60:63], 0 offset:368
	buffer_load_dword v7, off, s[60:63], 0 offset:372
	v_add_f64 v[60:61], v[86:87], v[60:61]
	v_mul_f64 v[86:87], v[118:119], s[10:11]
	s_waitcnt vmcnt(0)
	v_add_f64 v[88:89], v[88:89], -v[6:7]
	s_clause 0x1
	buffer_load_dword v6, off, s[60:63], 0 offset:288
	buffer_load_dword v7, off, s[60:63], 0 offset:292
	;; [unrolled: 14-line block ×3, first 2 shown]
	v_add_f64 v[0:1], v[92:93], v[0:1]
	v_mul_f64 v[92:93], v[127:128], s[2:3]
	v_add_f64 v[92:93], v[92:93], -v[4:5]
	s_waitcnt vmcnt(0)
	v_add_f64 v[94:95], v[6:7], v[94:95]
	s_clause 0x3
	buffer_load_dword v6, off, s[60:63], 0 offset:200
	buffer_load_dword v7, off, s[60:63], 0 offset:204
	;; [unrolled: 1-line block ×4, first 2 shown]
	v_add_f64 v[2:3], v[94:95], v[2:3]
	v_mul_f64 v[94:95], v[110:111], s[8:9]
	s_waitcnt vmcnt(2)
	v_add_f64 v[66:67], v[66:67], -v[6:7]
	s_waitcnt vmcnt(0)
	v_add_f64 v[96:97], v[98:99], v[96:97]
	s_clause 0x3
	buffer_load_dword v98, off, s[60:63], 0 offset:80
	buffer_load_dword v99, off, s[60:63], 0 offset:84
	;; [unrolled: 1-line block ×4, first 2 shown]
	v_add_f64 v[66:67], v[66:67], v[68:69]
	v_mul_f64 v[68:69], v[141:142], s[20:21]
	v_add_f64 v[34:35], v[96:97], v[34:35]
	v_mul_f64 v[96:97], v[116:117], s[18:19]
	s_waitcnt vmcnt(2)
	v_add_f64 v[80:81], v[80:81], -v[98:99]
	s_waitcnt vmcnt(0)
	v_add_f64 v[70:71], v[6:7], v[70:71]
	s_clause 0x1
	buffer_load_dword v6, off, s[60:63], 0 offset:408
	buffer_load_dword v7, off, s[60:63], 0 offset:412
	v_mul_f64 v[98:99], v[118:119], s[8:9]
	v_add_f64 v[32:33], v[80:81], v[32:33]
	v_add_f64 v[56:57], v[70:71], v[56:57]
	v_mul_f64 v[70:71], v[127:128], s[20:21]
	v_mul_f64 v[80:81], v[141:142], s[6:7]
	s_waitcnt vmcnt(0)
	v_add_f64 v[72:73], v[72:73], -v[6:7]
	s_clause 0x1
	buffer_load_dword v6, off, s[60:63], 0 offset:328
	buffer_load_dword v7, off, s[60:63], 0 offset:332
	v_add_f64 v[72:73], v[72:73], v[58:59]
	s_waitcnt vmcnt(0)
	v_add_f64 v[78:79], v[6:7], v[78:79]
	s_clause 0x1
	buffer_load_dword v6, off, s[60:63], 0 offset:312
	buffer_load_dword v7, off, s[60:63], 0 offset:316
	v_add_f64 v[60:61], v[78:79], v[60:61]
	v_mul_f64 v[78:79], v[127:128], s[6:7]
	s_waitcnt vmcnt(0)
	v_add_f64 v[82:83], v[82:83], -v[6:7]
	s_clause 0x1
	buffer_load_dword v6, off, s[60:63], 0 offset:264
	buffer_load_dword v7, off, s[60:63], 0 offset:268
	v_add_f64 v[82:83], v[82:83], v[62:63]
	s_waitcnt vmcnt(0)
	v_add_f64 v[86:87], v[6:7], v[86:87]
	s_clause 0x1
	buffer_load_dword v6, off, s[60:63], 0 offset:256
	buffer_load_dword v7, off, s[60:63], 0 offset:260
	v_add_f64 v[64:65], v[86:87], v[64:65]
	v_mul_f64 v[86:87], v[127:128], s[24:25]
	s_waitcnt vmcnt(0)
	v_add_f64 v[90:91], v[90:91], -v[6:7]
	s_clause 0x1
	buffer_load_dword v6, off, s[60:63], 0 offset:184
	buffer_load_dword v7, off, s[60:63], 0 offset:188
	v_add_f64 v[0:1], v[90:91], v[0:1]
	v_add_f64 v[90:91], v[199:200], v[54:55]
	s_waitcnt vmcnt(0)
	v_add_f64 v[98:99], v[6:7], v[98:99]
	s_clause 0x5
	buffer_load_dword v6, off, s[60:63], 0 offset:176
	buffer_load_dword v7, off, s[60:63], 0 offset:180
	;; [unrolled: 1-line block ×6, first 2 shown]
	v_add_f64 v[2:3], v[98:99], v[2:3]
	v_mul_f64 v[98:99], v[141:142], s[22:23]
	s_waitcnt vmcnt(4)
	v_add_f64 v[94:95], v[94:95], -v[6:7]
	s_clause 0x1
	buffer_load_dword v6, off, s[60:63], 0 offset:400
	buffer_load_dword v7, off, s[60:63], 0 offset:404
	s_waitcnt vmcnt(4)
	v_add_f64 v[100:101], v[102:103], v[100:101]
	v_fma_f64 v[102:103], v[110:111], s[16:17], v[96:97]
	v_fma_f64 v[96:97], v[110:111], s[16:17], -v[96:97]
	s_waitcnt vmcnt(2)
	v_add_f64 v[104:105], v[104:105], -v[106:107]
	v_add_f64 v[94:95], v[94:95], v[66:67]
	v_add_f64 v[66:67], v[42:43], v[28:29]
	;; [unrolled: 1-line block ×3, first 2 shown]
	v_mul_f64 v[100:101], v[131:132], s[42:43]
	v_add_f64 v[74:75], v[96:97], v[74:75]
	v_add_f64 v[104:105], v[104:105], v[32:33]
	;; [unrolled: 1-line block ×7, first 2 shown]
	s_waitcnt vmcnt(0)
	v_add_f64 v[68:69], v[6:7], v[68:69]
	s_clause 0x1
	buffer_load_dword v6, off, s[60:63], 0 offset:392
	buffer_load_dword v7, off, s[60:63], 0 offset:396
	v_add_f64 v[48:49], v[68:69], v[56:57]
	s_waitcnt vmcnt(0)
	v_add_f64 v[70:71], v[70:71], -v[6:7]
	s_clause 0x1
	buffer_load_dword v6, off, s[60:63], 0 offset:296
	buffer_load_dword v7, off, s[60:63], 0 offset:300
	v_add_f64 v[46:47], v[70:71], v[72:73]
	s_waitcnt vmcnt(0)
	v_add_f64 v[80:81], v[6:7], v[80:81]
	s_clause 0x1
	buffer_load_dword v6, off, s[60:63], 0 offset:280
	buffer_load_dword v7, off, s[60:63], 0 offset:284
	s_waitcnt vmcnt(0)
	v_add_f64 v[78:79], v[78:79], -v[6:7]
	s_clause 0x1
	buffer_load_dword v6, off, s[60:63], 0 offset:232
	buffer_load_dword v7, off, s[60:63], 0 offset:236
	s_waitcnt vmcnt(0)
	v_add_f64 v[84:85], v[6:7], v[84:85]
	s_clause 0x1
	buffer_load_dword v6, off, s[60:63], 0 offset:224
	buffer_load_dword v7, off, s[60:63], 0 offset:228
	v_add_f64 v[56:57], v[84:85], v[64:65]
	s_waitcnt vmcnt(0)
	v_add_f64 v[86:87], v[86:87], -v[6:7]
	s_clause 0x9
	buffer_load_dword v6, off, s[60:63], 0 offset:168
	buffer_load_dword v7, off, s[60:63], 0 offset:172
	;; [unrolled: 1-line block ×10, first 2 shown]
	v_add_f64 v[54:55], v[86:87], v[0:1]
	s_waitcnt vmcnt(8)
	v_add_f64 v[88:89], v[6:7], v[88:89]
	v_mov_b32_e32 v4, v36
	v_mov_b32_e32 v5, v37
	;; [unrolled: 1-line block ×4, first 2 shown]
	v_add_f64 v[36:37], v[26:27], v[44:45]
	v_add_f64 v[44:45], v[171:172], v[52:53]
	;; [unrolled: 1-line block ×3, first 2 shown]
	s_waitcnt vmcnt(2)
	v_add_f64 v[98:99], v[106:107], v[98:99]
	s_waitcnt vmcnt(0)
	v_add_f64 v[108:109], v[108:109], -v[110:111]
	v_add_f64 v[110:111], v[143:144], v[50:51]
	v_fma_f64 v[106:107], v[127:128], s[10:11], v[100:101]
	v_fma_f64 v[100:101], v[127:128], s[10:11], -v[100:101]
	v_add_f64 v[50:51], v[78:79], v[82:83]
	v_add_f64 v[60:61], v[88:89], v[2:3]
	s_clause 0x3
	buffer_load_dword v2, off, s[60:63], 0 offset:192
	buffer_load_dword v3, off, s[60:63], 0 offset:196
	;; [unrolled: 1-line block ×4, first 2 shown]
	v_add_f64 v[64:65], v[98:99], v[34:35]
	v_add_f64 v[62:63], v[108:109], v[104:105]
	;; [unrolled: 1-line block ×4, first 2 shown]
	s_waitcnt vmcnt(2)
	v_add_f64 v[68:69], v[2:3], v[30:31]
	v_add_f64 v[30:31], v[106:107], v[76:77]
	s_waitcnt vmcnt(1)
	v_and_b32_e32 v0, 0xffff, v0
	s_waitcnt vmcnt(0)
	v_add_lshl_u32 v0, v1, v0, 4
	ds_write_b128 v0, v[66:69]
	ds_write_b128 v0, v[62:65] offset:16
	ds_write_b128 v0, v[58:61] offset:32
	ds_write_b128 v0, v[54:57] offset:48
	ds_write_b128 v0, v[50:53] offset:64
	ds_write_b128 v0, v[46:49] offset:80
	ds_write_b128 v0, v[42:45] offset:96
	ds_write_b128 v0, v[38:41] offset:112
	ds_write_b128 v0, v[34:37] offset:128
	ds_write_b128 v0, v[30:33] offset:144
	ds_write_b128 v0, v[4:7] offset:160
	ds_write_b128 v0, v[20:23] offset:176
	ds_write_b128 v0, v[16:19] offset:192
	ds_write_b128 v0, v[12:15] offset:208
	ds_write_b128 v0, v[8:11] offset:224
	ds_write_b128 v0, v[112:115] offset:240
	s_clause 0x3
	buffer_load_dword v28, off, s[60:63], 0 offset:12
	buffer_load_dword v29, off, s[60:63], 0 offset:16
	buffer_load_dword v30, off, s[60:63], 0 offset:20
	buffer_load_dword v31, off, s[60:63], 0 offset:24
	s_waitcnt vmcnt(0)
	ds_write_b128 v0, v[28:31] offset:256
.LBB0_7:
	s_or_b32 exec_lo, exec_lo, s33
	buffer_load_dword v145, off, s[60:63], 0 ; 4-byte Folded Reload
	s_mov_b32 s11, 0xbfee6f0e
	s_mov_b32 s2, 0x4755a5e
	;; [unrolled: 1-line block ×9, first 2 shown]
	s_waitcnt vmcnt(0)
	v_mad_u64_u32 v[0:1], null, 0x90, v145, s[4:5]
	s_load_dwordx4 s[4:7], s[0:1], 0x0
	s_waitcnt lgkmcnt(0)
	s_waitcnt_vscnt null, 0x0
	s_barrier
	buffer_gl0_inv
	s_mov_b32 s0, 0x134454ff
	s_mov_b32 s1, 0x3fee6f0e
	s_clause 0x8
	global_load_dwordx4 v[32:35], v[0:1], off offset:32
	global_load_dwordx4 v[40:43], v[0:1], off offset:64
	;; [unrolled: 1-line block ×4, first 2 shown]
	global_load_dwordx4 v[28:31], v[0:1], off
	global_load_dwordx4 v[60:63], v[0:1], off offset:16
	global_load_dwordx4 v[56:59], v[0:1], off offset:48
	;; [unrolled: 1-line block ×4, first 2 shown]
	buffer_load_dword v0, off, s[60:63], 0 offset:4 ; 4-byte Folded Reload
	s_mov_b32 s10, s0
	s_waitcnt vmcnt(0)
	v_add_lshl_u32 v146, v0, v145, 4
	ds_read_b128 v[64:67], v146 offset:816
	ds_read_b128 v[68:71], v146 offset:1360
	;; [unrolled: 1-line block ×9, first 2 shown]
	s_waitcnt lgkmcnt(8)
	v_mul_f64 v[0:1], v[66:67], v[34:35]
	s_waitcnt lgkmcnt(7)
	v_mul_f64 v[100:101], v[70:71], v[42:43]
	v_mul_f64 v[102:103], v[68:69], v[42:43]
	s_waitcnt lgkmcnt(6)
	v_mul_f64 v[104:105], v[74:75], v[38:39]
	s_waitcnt lgkmcnt(5)
	;; [unrolled: 2-line block ×6, first 2 shown]
	v_mul_f64 v[125:126], v[94:95], v[54:55]
	v_mul_f64 v[2:3], v[64:65], v[34:35]
	;; [unrolled: 1-line block ×8, first 2 shown]
	s_waitcnt lgkmcnt(0)
	v_mul_f64 v[129:130], v[96:97], v[50:51]
	v_fma_f64 v[0:1], v[64:65], v[32:33], -v[0:1]
	v_fma_f64 v[68:69], v[68:69], v[40:41], -v[100:101]
	v_mul_f64 v[100:101], v[98:99], v[50:51]
	v_fma_f64 v[72:73], v[72:73], v[36:37], -v[104:105]
	v_fma_f64 v[76:77], v[76:77], v[44:45], -v[110:111]
	v_fma_f64 v[80:81], v[80:81], v[28:29], -v[112:113]
	v_fma_f64 v[84:85], v[84:85], v[60:61], -v[116:117]
	v_fma_f64 v[88:89], v[88:89], v[56:57], -v[121:122]
	v_fma_f64 v[92:93], v[92:93], v[52:53], -v[125:126]
	v_fma_f64 v[2:3], v[66:67], v[32:33], v[2:3]
	ds_read_b128 v[64:67], v146
	v_fma_f64 v[70:71], v[70:71], v[40:41], v[102:103]
	v_fma_f64 v[74:75], v[74:75], v[36:37], v[106:107]
	;; [unrolled: 1-line block ×8, first 2 shown]
	v_add_f64 v[143:144], v[0:1], -v[68:69]
	v_fma_f64 v[96:97], v[96:97], v[48:49], -v[100:101]
	v_add_f64 v[102:103], v[68:69], v[72:73]
	v_add_f64 v[108:109], v[0:1], v[76:77]
	v_add_f64 v[121:122], v[0:1], -v[76:77]
	v_add_f64 v[149:150], v[68:69], -v[0:1]
	v_add_f64 v[0:1], v[80:81], v[0:1]
	s_waitcnt lgkmcnt(0)
	v_add_f64 v[100:101], v[64:65], v[84:85]
	v_add_f64 v[110:111], v[88:89], v[92:93]
	v_add_f64 v[125:126], v[84:85], -v[88:89]
	v_add_f64 v[131:132], v[88:89], -v[84:85]
	;; [unrolled: 1-line block ×3, first 2 shown]
	v_add_f64 v[106:107], v[2:3], v[78:79]
	v_add_f64 v[116:117], v[2:3], -v[78:79]
	v_add_f64 v[139:140], v[88:89], -v[92:93]
	v_add_f64 v[114:115], v[90:91], -v[94:95]
	v_add_f64 v[112:113], v[86:87], -v[98:99]
	v_add_f64 v[153:154], v[2:3], -v[70:71]
	v_add_f64 v[157:158], v[70:71], -v[2:3]
	v_add_f64 v[2:3], v[82:83], v[2:3]
	v_add_f64 v[104:105], v[70:71], v[74:75]
	v_add_f64 v[123:124], v[68:69], -v[72:73]
	v_add_f64 v[151:152], v[72:73], -v[76:77]
	v_add_f64 v[129:130], v[84:85], v[96:97]
	v_fma_f64 v[102:103], v[102:103], -0.5, v[80:81]
	v_fma_f64 v[108:109], v[108:109], -0.5, v[80:81]
	v_add_f64 v[127:128], v[96:97], -v[92:93]
	v_add_f64 v[133:134], v[92:93], -v[96:97]
	v_add_f64 v[0:1], v[0:1], v[68:69]
	v_add_f64 v[88:89], v[100:101], v[88:89]
	v_fma_f64 v[80:81], v[110:111], -0.5, v[64:65]
	v_add_f64 v[147:148], v[76:77], -v[72:73]
	v_add_f64 v[155:156], v[78:79], -v[74:75]
	v_add_f64 v[159:160], v[74:75], -v[78:79]
	v_fma_f64 v[106:107], v[106:107], -0.5, v[82:83]
	v_add_f64 v[137:138], v[90:91], v[94:95]
	v_add_f64 v[141:142], v[86:87], v[98:99]
	;; [unrolled: 1-line block ×3, first 2 shown]
	v_add_f64 v[84:85], v[84:85], -v[96:97]
	v_add_f64 v[169:170], v[86:87], -v[90:91]
	;; [unrolled: 1-line block ×3, first 2 shown]
	v_add_f64 v[2:3], v[2:3], v[70:71]
	v_fma_f64 v[104:105], v[104:105], -0.5, v[82:83]
	v_add_f64 v[86:87], v[90:91], -v[86:87]
	v_add_f64 v[173:174], v[94:95], -v[98:99]
	v_fma_f64 v[64:65], v[129:130], -0.5, v[64:65]
	v_fma_f64 v[167:168], v[116:117], s[10:11], v[102:103]
	v_fma_f64 v[165:166], v[118:119], s[0:1], v[108:109]
	;; [unrolled: 1-line block ×4, first 2 shown]
	v_add_f64 v[0:1], v[0:1], v[72:73]
	v_add_f64 v[88:89], v[88:89], v[92:93]
	v_fma_f64 v[68:69], v[112:113], s[0:1], v[80:81]
	v_fma_f64 v[70:71], v[112:113], s[10:11], v[80:81]
	v_add_f64 v[129:130], v[149:150], v[151:152]
	v_add_f64 v[100:101], v[125:126], v[127:128]
	v_fma_f64 v[163:164], v[123:124], s[0:1], v[106:107]
	v_fma_f64 v[106:107], v[123:124], s[10:11], v[106:107]
	v_fma_f64 v[82:83], v[137:138], -0.5, v[66:67]
	v_fma_f64 v[66:67], v[141:142], -0.5, v[66:67]
	v_add_f64 v[110:111], v[143:144], v[147:148]
	v_add_f64 v[137:138], v[153:154], v[155:156]
	;; [unrolled: 1-line block ×4, first 2 shown]
	v_fma_f64 v[161:162], v[121:122], s[10:11], v[104:105]
	v_fma_f64 v[104:105], v[121:122], s[0:1], v[104:105]
	v_add_f64 v[90:91], v[135:136], v[90:91]
	v_fma_f64 v[80:81], v[114:115], s[10:11], v[64:65]
	v_fma_f64 v[64:65], v[114:115], s[0:1], v[64:65]
	;; [unrolled: 1-line block ×4, first 2 shown]
	v_add_f64 v[116:117], v[131:132], v[133:134]
	v_add_f64 v[0:1], v[0:1], v[76:77]
	;; [unrolled: 1-line block ×3, first 2 shown]
	v_fma_f64 v[68:69], v[114:115], s[2:3], v[68:69]
	v_fma_f64 v[70:71], v[114:115], s[16:17], v[70:71]
	;; [unrolled: 1-line block ×10, first 2 shown]
	v_add_f64 v[86:87], v[86:87], v[173:174]
	v_add_f64 v[2:3], v[2:3], v[78:79]
	v_fma_f64 v[143:144], v[123:124], s[16:17], v[161:162]
	v_fma_f64 v[104:105], v[123:124], s[2:3], v[104:105]
	v_add_f64 v[90:91], v[90:91], v[94:95]
	v_fma_f64 v[72:73], v[112:113], s[2:3], v[80:81]
	v_fma_f64 v[64:65], v[112:113], s[16:17], v[64:65]
	;; [unrolled: 1-line block ×6, first 2 shown]
	v_add_f64 v[68:69], v[88:89], -v[0:1]
	v_fma_f64 v[131:132], v[110:111], s[8:9], v[151:152]
	v_fma_f64 v[125:126], v[141:142], s[8:9], v[147:148]
	;; [unrolled: 1-line block ×4, first 2 shown]
	v_add_f64 v[110:111], v[169:170], v[171:172]
	v_fma_f64 v[74:75], v[139:140], s[16:17], v[118:119]
	v_fma_f64 v[80:81], v[139:140], s[2:3], v[82:83]
	;; [unrolled: 1-line block ×6, first 2 shown]
	v_add_f64 v[90:91], v[90:91], v[98:99]
	v_fma_f64 v[100:101], v[116:117], s[8:9], v[72:73]
	v_fma_f64 v[116:117], v[116:117], s[8:9], v[64:65]
	v_add_f64 v[64:65], v[88:89], v[0:1]
	buffer_load_dword v0, off, s[60:63], 0 offset:8 ; 4-byte Folded Reload
	v_mul_f64 v[94:95], v[127:128], s[8:9]
	v_mul_f64 v[118:119], v[108:109], s[10:11]
	;; [unrolled: 1-line block ×6, first 2 shown]
	v_fma_f64 v[74:75], v[110:111], s[8:9], v[74:75]
	v_fma_f64 v[110:111], v[110:111], s[8:9], v[80:81]
	;; [unrolled: 1-line block ×4, first 2 shown]
	v_mul_f64 v[84:85], v[123:124], s[2:3]
	v_mul_f64 v[129:130], v[104:105], s[18:19]
	v_add_f64 v[66:67], v[90:91], v[2:3]
	v_add_f64 v[70:71], v[90:91], -v[2:3]
	v_fma_f64 v[106:107], v[106:107], s[0:1], -v[94:95]
	v_fma_f64 v[104:105], v[104:105], s[2:3], -v[112:113]
	v_fma_f64 v[112:113], v[125:126], s[8:9], v[118:119]
	v_fma_f64 v[72:73], v[102:103], s[18:19], v[84:85]
	;; [unrolled: 1-line block ×4, first 2 shown]
	v_fma_f64 v[114:115], v[127:128], s[10:11], -v[121:122]
	v_fma_f64 v[118:119], v[131:132], s[16:17], -v[129:130]
	v_add_f64 v[80:81], v[116:117], v[106:107]
	v_add_f64 v[84:85], v[78:79], v[104:105]
	;; [unrolled: 1-line block ×3, first 2 shown]
	v_add_f64 v[88:89], v[78:79], -v[104:105]
	v_add_f64 v[78:79], v[133:134], -v[112:113]
	v_add_f64 v[96:97], v[76:77], v[72:73]
	v_add_f64 v[92:93], v[100:101], v[102:103]
	;; [unrolled: 1-line block ×5, first 2 shown]
	v_add_f64 v[72:73], v[76:77], -v[72:73]
	v_add_f64 v[76:77], v[100:101], -v[102:103]
	;; [unrolled: 1-line block ×6, first 2 shown]
	s_waitcnt vmcnt(0)
	v_lshl_add_u32 v145, v145, 4, v0
	ds_write_b128 v145, v[64:67]
	ds_write_b128 v145, v[68:71] offset:1360
	ds_write_b128 v145, v[96:99] offset:272
	;; [unrolled: 1-line block ×9, first 2 shown]
	s_waitcnt lgkmcnt(0)
	s_barrier
	buffer_gl0_inv
	s_and_saveexec_b32 s1, vcc_lo
	s_cbranch_execz .LBB0_9
; %bb.8:
	s_add_u32 s2, s12, 0xaa0
	s_addc_u32 s3, s13, 0
	v_add_co_u32 v0, s0, s2, v255
	s_clause 0xa
	global_load_dwordx4 v[104:107], v255, s[2:3]
	global_load_dwordx4 v[108:111], v255, s[2:3] offset:160
	global_load_dwordx4 v[112:115], v255, s[2:3] offset:320
	;; [unrolled: 1-line block ×10, first 2 shown]
	v_add_co_ci_u32_e64 v1, null, s3, 0, s0
	v_add_co_u32 v0, s0, 0x800, v0
	v_or_b32_e32 v2, 0xa00, v255
	global_load_dwordx4 v[151:154], v255, s[2:3] offset:1760
	v_add_co_ci_u32_e64 v1, s0, 0, v1, s0
	s_clause 0x4
	global_load_dwordx4 v[155:158], v255, s[2:3] offset:1920
	global_load_dwordx4 v[159:162], v2, s[2:3]
	global_load_dwordx4 v[163:166], v[0:1], off offset:32
	global_load_dwordx4 v[167:170], v[0:1], off offset:192
	;; [unrolled: 1-line block ×3, first 2 shown]
	ds_read_b128 v[175:178], v145
	ds_read_b128 v[179:182], v145 offset:160
	ds_read_b128 v[183:186], v145 offset:320
	;; [unrolled: 1-line block ×7, first 2 shown]
	s_waitcnt vmcnt(16) lgkmcnt(7)
	v_mul_f64 v[0:1], v[177:178], v[106:107]
	v_mul_f64 v[2:3], v[175:176], v[106:107]
	s_waitcnt vmcnt(15) lgkmcnt(6)
	v_mul_f64 v[207:208], v[181:182], v[110:111]
	v_mul_f64 v[110:111], v[179:180], v[110:111]
	;; [unrolled: 3-line block ×6, first 2 shown]
	v_fma_f64 v[175:176], v[175:176], v[104:105], -v[0:1]
	v_mul_f64 v[0:1], v[197:198], v[127:128]
	v_fma_f64 v[177:178], v[177:178], v[104:105], v[2:3]
	ds_read_b128 v[104:107], v145 offset:1280
	v_mul_f64 v[2:3], v[195:196], v[127:128]
	v_fma_f64 v[179:180], v[179:180], v[108:109], -v[207:208]
	v_fma_f64 v[181:182], v[181:182], v[108:109], v[110:111]
	ds_read_b128 v[108:111], v145 offset:1440
	s_waitcnt vmcnt(9) lgkmcnt(2)
	v_mul_f64 v[217:218], v[205:206], v[135:136]
	v_mul_f64 v[135:136], v[203:204], v[135:136]
	v_fma_f64 v[183:184], v[183:184], v[112:113], -v[209:210]
	ds_read_b128 v[207:210], v145 offset:1600
	v_fma_f64 v[185:186], v[185:186], v[112:113], v[114:115]
	v_fma_f64 v[112:113], v[187:188], v[116:117], -v[211:212]
	v_fma_f64 v[114:115], v[189:190], v[116:117], v[118:119]
	ds_read_b128 v[116:119], v145 offset:1760
	v_fma_f64 v[187:188], v[191:192], v[121:122], -v[213:214]
	v_fma_f64 v[189:190], v[193:194], v[121:122], v[123:124]
	ds_read_b128 v[121:124], v145 offset:1920
	ds_read_b128 v[191:194], v145 offset:2080
	v_fma_f64 v[199:200], v[199:200], v[129:130], -v[215:216]
	v_fma_f64 v[201:202], v[201:202], v[129:130], v[131:132]
	s_waitcnt vmcnt(8) lgkmcnt(5)
	v_mul_f64 v[219:220], v[106:107], v[139:140]
	v_mul_f64 v[139:140], v[104:105], v[139:140]
	v_fma_f64 v[195:196], v[195:196], v[125:126], -v[0:1]
	v_fma_f64 v[197:198], v[197:198], v[125:126], v[2:3]
	s_waitcnt vmcnt(7) lgkmcnt(4)
	v_mul_f64 v[0:1], v[110:111], v[143:144]
	v_mul_f64 v[2:3], v[108:109], v[143:144]
	ds_read_b128 v[125:128], v145 offset:2560
	v_fma_f64 v[203:204], v[203:204], v[133:134], -v[217:218]
	v_fma_f64 v[205:206], v[205:206], v[133:134], v[135:136]
	s_waitcnt vmcnt(6) lgkmcnt(4)
	v_mul_f64 v[133:134], v[209:210], v[149:150]
	v_mul_f64 v[135:136], v[207:208], v[149:150]
	ds_read_b128 v[129:132], v145 offset:2240
	ds_read_b128 v[211:214], v145 offset:2400
	s_waitcnt vmcnt(5) lgkmcnt(5)
	v_mul_f64 v[143:144], v[118:119], v[153:154]
	v_mul_f64 v[149:150], v[116:117], v[153:154]
	v_fma_f64 v[104:105], v[104:105], v[137:138], -v[219:220]
	v_fma_f64 v[106:107], v[106:107], v[137:138], v[139:140]
	s_waitcnt vmcnt(4) lgkmcnt(4)
	v_mul_f64 v[137:138], v[123:124], v[157:158]
	v_mul_f64 v[139:140], v[121:122], v[157:158]
	s_waitcnt vmcnt(2) lgkmcnt(3)
	v_mul_f64 v[157:158], v[193:194], v[165:166]
	v_fma_f64 v[108:109], v[108:109], v[141:142], -v[0:1]
	v_mul_f64 v[0:1], v[191:192], v[165:166]
	v_fma_f64 v[110:111], v[110:111], v[141:142], v[2:3]
	s_waitcnt vmcnt(1) lgkmcnt(1)
	v_mul_f64 v[2:3], v[131:132], v[169:170]
	v_mul_f64 v[141:142], v[129:130], v[169:170]
	s_waitcnt vmcnt(0) lgkmcnt(0)
	v_mul_f64 v[165:166], v[213:214], v[173:174]
	v_fma_f64 v[133:134], v[207:208], v[147:148], -v[133:134]
	v_fma_f64 v[135:136], v[209:210], v[147:148], v[135:136]
	v_mul_f64 v[147:148], v[211:212], v[173:174]
	v_mul_f64 v[153:154], v[127:128], v[161:162]
	;; [unrolled: 1-line block ×3, first 2 shown]
	v_fma_f64 v[116:117], v[116:117], v[151:152], -v[143:144]
	v_fma_f64 v[118:119], v[118:119], v[151:152], v[149:150]
	v_fma_f64 v[121:122], v[121:122], v[155:156], -v[137:138]
	v_fma_f64 v[123:124], v[123:124], v[155:156], v[139:140]
	v_fma_f64 v[137:138], v[191:192], v[163:164], -v[157:158]
	v_fma_f64 v[139:140], v[193:194], v[163:164], v[0:1]
	v_fma_f64 v[129:130], v[129:130], v[167:168], -v[2:3]
	v_fma_f64 v[131:132], v[131:132], v[167:168], v[141:142]
	v_fma_f64 v[141:142], v[211:212], v[171:172], -v[165:166]
	v_fma_f64 v[143:144], v[213:214], v[171:172], v[147:148]
	v_fma_f64 v[125:126], v[125:126], v[159:160], -v[153:154]
	v_fma_f64 v[127:128], v[127:128], v[159:160], v[161:162]
	ds_write_b128 v145, v[175:178]
	ds_write_b128 v145, v[179:182] offset:160
	ds_write_b128 v145, v[183:186] offset:320
	;; [unrolled: 1-line block ×16, first 2 shown]
.LBB0_9:
	s_or_b32 exec_lo, exec_lo, s1
	s_waitcnt lgkmcnt(0)
	s_barrier
	buffer_gl0_inv
	s_and_saveexec_b32 s0, vcc_lo
	s_cbranch_execz .LBB0_11
; %bb.10:
	ds_read_b128 v[64:67], v145
	ds_read_b128 v[96:99], v145 offset:160
	ds_read_b128 v[92:95], v145 offset:320
	ds_read_b128 v[80:83], v145 offset:480
	ds_read_b128 v[84:87], v145 offset:640
	ds_read_b128 v[68:71], v145 offset:800
	ds_read_b128 v[72:75], v145 offset:960
	ds_read_b128 v[76:79], v145 offset:1120
	ds_read_b128 v[100:103], v145 offset:1280
	ds_read_b128 v[88:91], v145 offset:1440
	ds_read_b128 v[4:7], v145 offset:1600
	ds_read_b128 v[20:23], v145 offset:1760
	ds_read_b128 v[16:19], v145 offset:1920
	ds_read_b128 v[12:15], v145 offset:2080
	ds_read_b128 v[8:11], v145 offset:2240
	ds_read_b128 v[0:3], v145 offset:2400
	s_waitcnt lgkmcnt(0)
	buffer_store_dword v0, off, s[60:63], 0 offset:28 ; 4-byte Folded Spill
	buffer_store_dword v1, off, s[60:63], 0 offset:32 ; 4-byte Folded Spill
	;; [unrolled: 1-line block ×4, first 2 shown]
	ds_read_b128 v[0:3], v145 offset:2560
	s_waitcnt lgkmcnt(0)
	buffer_store_dword v0, off, s[60:63], 0 offset:12 ; 4-byte Folded Spill
	buffer_store_dword v1, off, s[60:63], 0 offset:16 ; 4-byte Folded Spill
	buffer_store_dword v2, off, s[60:63], 0 offset:20 ; 4-byte Folded Spill
	buffer_store_dword v3, off, s[60:63], 0 offset:24 ; 4-byte Folded Spill
.LBB0_11:
	s_or_b32 exec_lo, exec_lo, s0
	s_waitcnt_vscnt null, 0x0
	s_barrier
	buffer_gl0_inv
	s_and_saveexec_b32 s33, vcc_lo
	s_cbranch_execz .LBB0_13
; %bb.12:
	s_clause 0x7
	buffer_load_dword v179, off, s[60:63], 0 offset:12
	buffer_load_dword v180, off, s[60:63], 0 offset:16
	;; [unrolled: 1-line block ×8, first 2 shown]
	v_add_f64 v[0:1], v[66:67], v[98:99]
	v_add_f64 v[2:3], v[64:65], v[96:97]
	s_mov_b32 s2, 0xacd6c6b4
	s_mov_b32 s3, 0xbfc7851a
	;; [unrolled: 1-line block ×6, first 2 shown]
	v_add_f64 v[114:115], v[80:81], -v[8:9]
	s_mov_b32 s16, 0x4363dd80
	s_mov_b32 s10, 0x370991
	;; [unrolled: 1-line block ×4, first 2 shown]
	v_add_f64 v[123:124], v[84:85], -v[12:13]
	v_add_f64 v[133:134], v[82:83], v[10:11]
	v_add_f64 v[131:132], v[80:81], v[8:9]
	s_mov_b32 s22, 0x2a9d6da3
	s_mov_b32 s18, 0x910ea3b9
	;; [unrolled: 1-line block ×4, first 2 shown]
	v_add_f64 v[104:105], v[76:77], -v[4:5]
	v_add_f64 v[106:107], v[72:73], -v[20:21]
	v_add_f64 v[0:1], v[0:1], v[94:95]
	v_add_f64 v[2:3], v[2:3], v[92:93]
	v_add_f64 v[108:109], v[68:69], -v[16:17]
	v_add_f64 v[127:128], v[86:87], v[14:15]
	s_mov_b32 s26, 0x6c9a05f6
	s_mov_b32 s20, 0x75d4884
	;; [unrolled: 1-line block ×4, first 2 shown]
	v_mul_f64 v[153:154], v[114:115], s[16:17]
	s_mov_b32 s24, 0x6ed5f1bb
	s_mov_b32 s30, 0x7c9e640b
	;; [unrolled: 1-line block ×13, first 2 shown]
	v_add_f64 v[0:1], v[0:1], v[82:83]
	v_add_f64 v[2:3], v[2:3], v[80:81]
	;; [unrolled: 1-line block ×3, first 2 shown]
	s_mov_b32 s35, 0x3fb79ee6
	s_mov_b32 s41, 0xbfefdd0d
	;; [unrolled: 1-line block ×15, first 2 shown]
	v_add_f64 v[0:1], v[0:1], v[86:87]
	v_add_f64 v[2:3], v[2:3], v[84:85]
	;; [unrolled: 1-line block ×22, first 2 shown]
	s_waitcnt vmcnt(6)
	v_add_f64 v[137:138], v[96:97], -v[179:180]
	s_waitcnt vmcnt(4)
	v_add_f64 v[139:140], v[98:99], -v[181:182]
	;; [unrolled: 2-line block ×3, first 2 shown]
	v_add_f64 v[141:142], v[98:99], v[181:182]
	s_waitcnt vmcnt(0)
	v_add_f64 v[110:111], v[94:95], -v[175:176]
	v_add_f64 v[143:144], v[96:97], v[179:180]
	v_add_f64 v[118:119], v[94:95], v[175:176]
	v_add_f64 v[94:95], v[82:83], -v[10:11]
	v_add_f64 v[116:117], v[92:93], v[173:174]
	v_add_f64 v[98:99], v[100:101], -v[88:89]
	v_add_f64 v[96:97], v[102:103], v[90:91]
	v_add_f64 v[92:93], v[70:71], v[18:19]
	v_add_f64 v[82:83], v[102:103], -v[90:91]
	v_add_f64 v[102:103], v[84:85], v[12:13]
	v_add_f64 v[100:101], v[74:75], v[22:23]
	;; [unrolled: 1-line block ×3, first 2 shown]
	v_add_f64 v[90:91], v[78:79], -v[6:7]
	v_add_f64 v[84:85], v[76:77], v[4:5]
	v_fma_f64 v[76:77], v[133:134], s[18:19], v[153:154]
	v_fma_f64 v[153:154], v[133:134], s[18:19], -v[153:154]
	v_add_f64 v[2:3], v[2:3], v[173:174]
	v_add_f64 v[0:1], v[0:1], v[175:176]
	v_mul_f64 v[121:122], v[137:138], s[2:3]
	v_mul_f64 v[125:126], v[139:140], s[2:3]
	;; [unrolled: 1-line block ×7, first 2 shown]
	v_fma_f64 v[135:136], v[141:142], s[0:1], v[121:122]
	v_fma_f64 v[149:150], v[143:144], s[0:1], -v[125:126]
	v_fma_f64 v[151:152], v[141:142], s[0:1], -v[121:122]
	v_add_f64 v[121:122], v[86:87], -v[14:15]
	v_fma_f64 v[157:158], v[143:144], s[0:1], v[125:126]
	v_fma_f64 v[159:160], v[118:119], s[10:11], v[129:130]
	v_fma_f64 v[163:164], v[116:117], s[10:11], -v[147:148]
	v_fma_f64 v[165:166], v[118:119], s[10:11], -v[129:130]
	v_add_f64 v[129:130], v[68:69], v[16:17]
	v_add_f64 v[125:126], v[74:75], -v[22:23]
	v_add_f64 v[86:87], v[78:79], v[6:7]
	v_mul_f64 v[68:69], v[123:124], s[22:23]
	v_fma_f64 v[16:17], v[118:119], s[36:37], v[20:21]
	v_fma_f64 v[20:21], v[118:119], s[36:37], -v[20:21]
	v_fma_f64 v[6:7], v[118:119], s[18:19], -v[4:5]
	v_fma_f64 v[4:5], v[118:119], s[18:19], v[4:5]
	v_add_f64 v[161:162], v[66:67], v[135:136]
	v_add_f64 v[149:150], v[64:65], v[149:150]
	;; [unrolled: 1-line block ×3, first 2 shown]
	v_add_f64 v[135:136], v[70:71], -v[18:19]
	v_fma_f64 v[70:71], v[116:117], s[10:11], v[147:148]
	v_add_f64 v[72:73], v[64:65], v[157:158]
	v_fma_f64 v[147:148], v[131:132], s[18:19], -v[155:156]
	v_fma_f64 v[155:156], v[131:132], s[18:19], v[155:156]
	v_add_f64 v[74:75], v[159:160], v[161:162]
	v_add_f64 v[78:79], v[163:164], v[149:150]
	;; [unrolled: 1-line block ×3, first 2 shown]
	v_mul_f64 v[151:152], v[121:122], s[22:23]
	v_add_f64 v[70:71], v[70:71], v[72:73]
	v_mul_f64 v[72:73], v[108:109], s[26:27]
	v_add_f64 v[74:75], v[76:77], v[74:75]
	v_fma_f64 v[76:77], v[127:128], s[20:21], v[68:69]
	v_add_f64 v[78:79], v[147:148], v[78:79]
	v_fma_f64 v[147:148], v[102:103], s[20:21], -v[151:152]
	v_add_f64 v[149:150], v[153:154], v[149:150]
	v_mul_f64 v[153:154], v[135:136], s[26:27]
	v_fma_f64 v[68:69], v[127:128], s[20:21], -v[68:69]
	v_fma_f64 v[151:152], v[102:103], s[20:21], v[151:152]
	v_add_f64 v[70:71], v[155:156], v[70:71]
	v_mul_f64 v[155:156], v[106:107], s[30:31]
	v_add_f64 v[74:75], v[76:77], v[74:75]
	v_fma_f64 v[76:77], v[92:93], s[24:25], v[72:73]
	v_add_f64 v[78:79], v[147:148], v[78:79]
	v_fma_f64 v[72:73], v[92:93], s[24:25], -v[72:73]
	v_fma_f64 v[147:148], v[129:130], s[24:25], -v[153:154]
	v_add_f64 v[68:69], v[68:69], v[149:150]
	v_mul_f64 v[149:150], v[125:126], s[30:31]
	v_fma_f64 v[153:154], v[129:130], s[24:25], v[153:154]
	v_add_f64 v[70:71], v[151:152], v[70:71]
	v_mul_f64 v[151:152], v[104:105], s[38:39]
	v_add_f64 v[74:75], v[76:77], v[74:75]
	v_fma_f64 v[76:77], v[100:101], s[28:29], v[155:156]
	v_fma_f64 v[155:156], v[100:101], s[28:29], -v[155:156]
	v_add_f64 v[78:79], v[147:148], v[78:79]
	v_add_f64 v[68:69], v[72:73], v[68:69]
	v_fma_f64 v[147:148], v[88:89], s[28:29], -v[149:150]
	v_mul_f64 v[72:73], v[90:91], s[38:39]
	v_fma_f64 v[149:150], v[88:89], s[28:29], v[149:150]
	v_add_f64 v[70:71], v[153:154], v[70:71]
	v_mul_f64 v[153:154], v[98:99], s[42:43]
	v_add_f64 v[74:75], v[76:77], v[74:75]
	v_mul_f64 v[76:77], v[82:83], s[42:43]
	v_add_f64 v[68:69], v[155:156], v[68:69]
	v_add_f64 v[78:79], v[147:148], v[78:79]
	v_fma_f64 v[147:148], v[86:87], s[36:37], v[151:152]
	v_fma_f64 v[155:156], v[84:85], s[36:37], -v[72:73]
	v_add_f64 v[70:71], v[149:150], v[70:71]
	v_mul_f64 v[149:150], v[137:138], s[16:17]
	v_fma_f64 v[151:152], v[86:87], s[36:37], -v[151:152]
	v_fma_f64 v[72:73], v[84:85], s[36:37], v[72:73]
	v_fma_f64 v[24:25], v[96:97], s[34:35], v[153:154]
	v_fma_f64 v[153:154], v[96:97], s[34:35], -v[153:154]
	v_fma_f64 v[157:158], v[80:81], s[34:35], -v[76:77]
	v_fma_f64 v[76:77], v[80:81], s[34:35], v[76:77]
	v_add_f64 v[26:27], v[147:148], v[74:75]
	v_add_f64 v[74:75], v[155:156], v[78:79]
	v_mul_f64 v[78:79], v[139:140], s[16:17]
	v_mul_f64 v[147:148], v[112:113], s[30:31]
	v_add_f64 v[68:69], v[151:152], v[68:69]
	v_mul_f64 v[151:152], v[110:111], s[30:31]
	v_add_f64 v[72:73], v[72:73], v[70:71]
	v_fma_f64 v[70:71], v[141:142], s[18:19], v[149:150]
	v_fma_f64 v[149:150], v[141:142], s[18:19], -v[149:150]
	v_add_f64 v[26:27], v[24:25], v[26:27]
	v_add_f64 v[24:25], v[157:158], v[74:75]
	v_fma_f64 v[74:75], v[143:144], s[18:19], -v[78:79]
	v_fma_f64 v[155:156], v[118:119], s[28:29], v[147:148]
	v_fma_f64 v[78:79], v[143:144], s[18:19], v[78:79]
	v_fma_f64 v[147:148], v[118:119], s[28:29], -v[147:148]
	v_add_f64 v[157:158], v[66:67], v[70:71]
	v_add_f64 v[70:71], v[153:154], v[68:69]
	;; [unrolled: 1-line block ×3, first 2 shown]
	v_fma_f64 v[72:73], v[116:117], s[28:29], -v[151:152]
	v_mul_f64 v[76:77], v[114:115], s[40:41]
	v_fma_f64 v[151:152], v[116:117], s[28:29], v[151:152]
	v_add_f64 v[149:150], v[66:67], v[149:150]
	v_add_f64 v[74:75], v[64:65], v[74:75]
	;; [unrolled: 1-line block ×4, first 2 shown]
	v_mul_f64 v[155:156], v[94:95], s[40:41]
	v_add_f64 v[147:148], v[147:148], v[149:150]
	v_mul_f64 v[149:150], v[123:124], s[46:47]
	v_add_f64 v[72:73], v[72:73], v[74:75]
	v_fma_f64 v[74:75], v[133:134], s[34:35], v[76:77]
	v_add_f64 v[78:79], v[151:152], v[78:79]
	v_fma_f64 v[76:77], v[133:134], s[34:35], -v[76:77]
	v_fma_f64 v[151:152], v[131:132], s[34:35], -v[155:156]
	v_fma_f64 v[155:156], v[131:132], s[34:35], v[155:156]
	v_add_f64 v[74:75], v[74:75], v[153:154]
	v_mul_f64 v[153:154], v[121:122], s[46:47]
	v_add_f64 v[76:77], v[76:77], v[147:148]
	v_add_f64 v[72:73], v[151:152], v[72:73]
	v_fma_f64 v[151:152], v[127:128], s[24:25], v[149:150]
	v_add_f64 v[78:79], v[155:156], v[78:79]
	v_mul_f64 v[155:156], v[108:109], s[44:45]
	v_fma_f64 v[149:150], v[127:128], s[24:25], -v[149:150]
	v_fma_f64 v[147:148], v[102:103], s[24:25], -v[153:154]
	v_fma_f64 v[153:154], v[102:103], s[24:25], v[153:154]
	v_add_f64 v[74:75], v[151:152], v[74:75]
	v_mul_f64 v[151:152], v[135:136], s[44:45]
	v_add_f64 v[76:77], v[149:150], v[76:77]
	v_add_f64 v[72:73], v[147:148], v[72:73]
	v_fma_f64 v[147:148], v[92:93], s[10:11], v[155:156]
	v_fma_f64 v[155:156], v[92:93], s[10:11], -v[155:156]
	v_add_f64 v[78:79], v[153:154], v[78:79]
	v_mul_f64 v[153:154], v[104:105], s[22:23]
	v_fma_f64 v[149:150], v[129:130], s[10:11], -v[151:152]
	v_fma_f64 v[151:152], v[129:130], s[10:11], v[151:152]
	v_add_f64 v[74:75], v[147:148], v[74:75]
	v_mul_f64 v[147:148], v[106:107], s[2:3]
	v_add_f64 v[76:77], v[155:156], v[76:77]
	v_fma_f64 v[155:156], v[86:87], s[20:21], v[153:154]
	v_fma_f64 v[153:154], v[86:87], s[20:21], -v[153:154]
	v_add_f64 v[72:73], v[149:150], v[72:73]
	v_add_f64 v[78:79], v[151:152], v[78:79]
	v_mul_f64 v[151:152], v[90:91], s[22:23]
	v_fma_f64 v[149:150], v[100:101], s[0:1], v[147:148]
	v_fma_f64 v[147:148], v[100:101], s[0:1], -v[147:148]
	v_add_f64 v[74:75], v[149:150], v[74:75]
	v_mul_f64 v[149:150], v[125:126], s[2:3]
	v_add_f64 v[76:77], v[147:148], v[76:77]
	v_mul_f64 v[147:148], v[98:99], s[38:39]
	v_add_f64 v[74:75], v[155:156], v[74:75]
	v_fma_f64 v[157:158], v[88:89], s[0:1], -v[149:150]
	v_fma_f64 v[149:150], v[88:89], s[0:1], v[149:150]
	v_fma_f64 v[155:156], v[84:85], s[20:21], -v[151:152]
	v_fma_f64 v[151:152], v[84:85], s[20:21], v[151:152]
	v_add_f64 v[76:77], v[153:154], v[76:77]
	v_add_f64 v[72:73], v[157:158], v[72:73]
	;; [unrolled: 1-line block ×3, first 2 shown]
	v_mul_f64 v[149:150], v[82:83], s[38:39]
	v_add_f64 v[72:73], v[155:156], v[72:73]
	v_fma_f64 v[155:156], v[96:97], s[36:37], v[147:148]
	v_fma_f64 v[153:154], v[80:81], s[36:37], -v[149:150]
	v_add_f64 v[151:152], v[151:152], v[78:79]
	v_fma_f64 v[78:79], v[96:97], s[36:37], -v[147:148]
	v_fma_f64 v[147:148], v[80:81], s[36:37], v[149:150]
	v_mul_f64 v[149:150], v[137:138], s[26:27]
	v_add_f64 v[74:75], v[155:156], v[74:75]
	v_add_f64 v[72:73], v[153:154], v[72:73]
	v_mul_f64 v[153:154], v[139:140], s[26:27]
	v_add_f64 v[78:79], v[78:79], v[76:77]
	v_add_f64 v[76:77], v[147:148], v[151:152]
	v_fma_f64 v[22:23], v[141:142], s[24:25], v[149:150]
	v_mul_f64 v[151:152], v[110:111], s[48:49]
	v_mul_f64 v[155:156], v[114:115], s[44:45]
	v_fma_f64 v[149:150], v[141:142], s[24:25], -v[149:150]
	v_fma_f64 v[147:148], v[143:144], s[24:25], -v[153:154]
	v_add_f64 v[18:19], v[66:67], v[22:23]
	v_add_f64 v[149:150], v[66:67], v[149:150]
	;; [unrolled: 1-line block ×3, first 2 shown]
	v_fma_f64 v[147:148], v[116:117], s[36:37], -v[151:152]
	v_fma_f64 v[151:152], v[116:117], s[36:37], v[151:152]
	v_add_f64 v[16:17], v[16:17], v[18:19]
	v_add_f64 v[20:21], v[20:21], v[149:150]
	v_fma_f64 v[149:150], v[143:144], s[24:25], v[153:154]
	v_add_f64 v[18:19], v[147:148], v[22:23]
	v_fma_f64 v[22:23], v[133:134], s[10:11], v[155:156]
	v_mul_f64 v[147:148], v[94:95], s[44:45]
	v_add_f64 v[149:150], v[64:65], v[149:150]
	v_add_f64 v[16:17], v[22:23], v[16:17]
	v_fma_f64 v[22:23], v[131:132], s[10:11], -v[147:148]
	v_fma_f64 v[147:148], v[131:132], s[10:11], v[147:148]
	v_add_f64 v[149:150], v[151:152], v[149:150]
	v_fma_f64 v[151:152], v[133:134], s[10:11], -v[155:156]
	v_add_f64 v[18:19], v[22:23], v[18:19]
	v_mul_f64 v[22:23], v[123:124], s[16:17]
	v_add_f64 v[147:148], v[147:148], v[149:150]
	v_add_f64 v[20:21], v[151:152], v[20:21]
	v_mul_f64 v[149:150], v[104:105], s[2:3]
	v_fma_f64 v[157:158], v[127:128], s[18:19], v[22:23]
	v_fma_f64 v[22:23], v[127:128], s[18:19], -v[22:23]
	v_add_f64 v[16:17], v[157:158], v[16:17]
	v_mul_f64 v[157:158], v[121:122], s[16:17]
	v_add_f64 v[20:21], v[22:23], v[20:21]
	v_fma_f64 v[159:160], v[102:103], s[18:19], -v[157:158]
	v_fma_f64 v[22:23], v[102:103], s[18:19], v[157:158]
	v_mul_f64 v[157:158], v[137:138], s[40:41]
	v_add_f64 v[18:19], v[159:160], v[18:19]
	v_mul_f64 v[159:160], v[108:109], s[42:43]
	v_add_f64 v[22:23], v[22:23], v[147:148]
	v_fma_f64 v[161:162], v[92:93], s[34:35], v[159:160]
	v_fma_f64 v[147:148], v[92:93], s[34:35], -v[159:160]
	v_mul_f64 v[159:160], v[139:140], s[52:53]
	v_add_f64 v[16:17], v[161:162], v[16:17]
	v_mul_f64 v[161:162], v[135:136], s[42:43]
	v_add_f64 v[20:21], v[147:148], v[20:21]
	v_fma_f64 v[147:148], v[86:87], s[0:1], v[149:150]
	v_fma_f64 v[149:150], v[86:87], s[0:1], -v[149:150]
	v_fma_f64 v[163:164], v[129:130], s[34:35], -v[161:162]
	v_fma_f64 v[151:152], v[129:130], s[34:35], v[161:162]
	v_mul_f64 v[161:162], v[139:140], s[50:51]
	v_add_f64 v[18:19], v[163:164], v[18:19]
	v_mul_f64 v[163:164], v[106:107], s[50:51]
	v_add_f64 v[22:23], v[151:152], v[22:23]
	v_mul_f64 v[151:152], v[90:91], s[2:3]
	v_fma_f64 v[169:170], v[143:144], s[20:21], v[161:162]
	v_fma_f64 v[161:162], v[143:144], s[20:21], -v[161:162]
	v_fma_f64 v[165:166], v[100:101], s[20:21], v[163:164]
	v_fma_f64 v[153:154], v[100:101], s[20:21], -v[163:164]
	v_add_f64 v[169:170], v[64:65], v[169:170]
	v_add_f64 v[161:162], v[64:65], v[161:162]
	;; [unrolled: 1-line block ×3, first 2 shown]
	v_mul_f64 v[165:166], v[125:126], s[50:51]
	v_add_f64 v[20:21], v[153:154], v[20:21]
	v_mul_f64 v[153:154], v[98:99], s[30:31]
	v_add_f64 v[16:17], v[147:148], v[16:17]
	v_fma_f64 v[167:168], v[88:89], s[20:21], -v[165:166]
	v_fma_f64 v[155:156], v[88:89], s[20:21], v[165:166]
	v_fma_f64 v[147:148], v[84:85], s[0:1], -v[151:152]
	v_fma_f64 v[151:152], v[84:85], s[0:1], v[151:152]
	v_add_f64 v[20:21], v[149:150], v[20:21]
	v_add_f64 v[18:19], v[167:168], v[18:19]
	;; [unrolled: 1-line block ×3, first 2 shown]
	v_mul_f64 v[155:156], v[82:83], s[30:31]
	v_fma_f64 v[167:168], v[143:144], s[28:29], -v[159:160]
	v_fma_f64 v[159:160], v[143:144], s[28:29], v[159:160]
	v_add_f64 v[18:19], v[147:148], v[18:19]
	v_fma_f64 v[147:148], v[96:97], s[28:29], v[153:154]
	v_fma_f64 v[149:150], v[80:81], s[28:29], -v[155:156]
	v_fma_f64 v[153:154], v[96:97], s[28:29], -v[153:154]
	v_fma_f64 v[155:156], v[80:81], s[28:29], v[155:156]
	v_add_f64 v[22:23], v[151:152], v[22:23]
	v_mul_f64 v[151:152], v[137:138], s[38:39]
	v_add_f64 v[159:160], v[64:65], v[159:160]
	v_add_f64 v[14:15], v[147:148], v[16:17]
	v_mul_f64 v[147:148], v[137:138], s[52:53]
	v_add_f64 v[12:13], v[149:150], v[18:19]
	v_mul_f64 v[149:150], v[137:138], s[50:51]
	v_mul_f64 v[137:138], v[137:138], s[44:45]
	v_add_f64 v[18:19], v[153:154], v[20:21]
	v_add_f64 v[16:17], v[155:156], v[22:23]
	v_fma_f64 v[8:9], v[141:142], s[36:37], -v[151:152]
	v_fma_f64 v[10:11], v[141:142], s[36:37], v[151:152]
	v_fma_f64 v[20:21], v[141:142], s[34:35], v[157:158]
	v_fma_f64 v[22:23], v[141:142], s[34:35], -v[157:158]
	v_mul_f64 v[157:158], v[139:140], s[40:41]
	v_fma_f64 v[151:152], v[141:142], s[28:29], v[147:148]
	v_fma_f64 v[147:148], v[141:142], s[28:29], -v[147:148]
	v_fma_f64 v[153:154], v[141:142], s[20:21], -v[149:150]
	v_fma_f64 v[149:150], v[141:142], s[20:21], v[149:150]
	v_fma_f64 v[155:156], v[141:142], s[10:11], -v[137:138]
	v_fma_f64 v[137:138], v[141:142], s[10:11], v[137:138]
	v_mul_f64 v[141:142], v[139:140], s[38:39]
	v_mul_f64 v[139:140], v[139:140], s[44:45]
	v_add_f64 v[8:9], v[66:67], v[8:9]
	v_add_f64 v[10:11], v[66:67], v[10:11]
	v_fma_f64 v[165:166], v[143:144], s[34:35], -v[157:158]
	v_fma_f64 v[157:158], v[143:144], s[34:35], v[157:158]
	v_add_f64 v[20:21], v[66:67], v[20:21]
	v_add_f64 v[22:23], v[66:67], v[22:23]
	v_add_f64 v[151:152], v[66:67], v[151:152]
	v_add_f64 v[147:148], v[66:67], v[147:148]
	v_add_f64 v[153:154], v[66:67], v[153:154]
	v_add_f64 v[149:150], v[66:67], v[149:150]
	v_add_f64 v[155:156], v[66:67], v[155:156]
	v_add_f64 v[66:67], v[66:67], v[137:138]
	v_fma_f64 v[163:164], v[143:144], s[36:37], -v[141:142]
	v_fma_f64 v[141:142], v[143:144], s[36:37], v[141:142]
	v_fma_f64 v[171:172], v[143:144], s[10:11], v[139:140]
	v_fma_f64 v[139:140], v[143:144], s[10:11], -v[139:140]
	v_mul_f64 v[137:138], v[114:115], s[22:23]
	v_add_f64 v[157:158], v[64:65], v[157:158]
	v_add_f64 v[6:7], v[6:7], v[8:9]
	;; [unrolled: 1-line block ×3, first 2 shown]
	v_mul_f64 v[8:9], v[110:111], s[54:55]
	v_add_f64 v[143:144], v[64:65], v[163:164]
	v_add_f64 v[141:142], v[64:65], v[141:142]
	;; [unrolled: 1-line block ×6, first 2 shown]
	v_fma_f64 v[139:140], v[133:134], s[20:21], -v[137:138]
	v_fma_f64 v[137:138], v[133:134], s[20:21], v[137:138]
	v_fma_f64 v[10:11], v[116:117], s[18:19], -v[8:9]
	v_fma_f64 v[8:9], v[116:117], s[18:19], v[8:9]
	v_add_f64 v[6:7], v[139:140], v[6:7]
	v_add_f64 v[4:5], v[137:138], v[4:5]
	v_mul_f64 v[137:138], v[94:95], s[22:23]
	v_add_f64 v[10:11], v[10:11], v[143:144]
	v_add_f64 v[8:9], v[8:9], v[141:142]
	v_fma_f64 v[139:140], v[131:132], s[20:21], -v[137:138]
	v_fma_f64 v[137:138], v[131:132], s[20:21], v[137:138]
	v_add_f64 v[10:11], v[139:140], v[10:11]
	v_mul_f64 v[139:140], v[123:124], s[52:53]
	v_add_f64 v[8:9], v[137:138], v[8:9]
	v_mul_f64 v[137:138], v[112:113], s[2:3]
	v_fma_f64 v[143:144], v[127:128], s[28:29], -v[139:140]
	v_fma_f64 v[139:140], v[127:128], s[28:29], v[139:140]
	v_add_f64 v[6:7], v[143:144], v[6:7]
	v_add_f64 v[4:5], v[139:140], v[4:5]
	v_mul_f64 v[139:140], v[121:122], s[52:53]
	v_fma_f64 v[143:144], v[102:103], s[28:29], -v[139:140]
	v_fma_f64 v[139:140], v[102:103], s[28:29], v[139:140]
	v_add_f64 v[10:11], v[143:144], v[10:11]
	v_mul_f64 v[143:144], v[108:109], s[2:3]
	v_add_f64 v[8:9], v[139:140], v[8:9]
	v_fma_f64 v[171:172], v[92:93], s[0:1], -v[143:144]
	v_fma_f64 v[143:144], v[92:93], s[0:1], v[143:144]
	v_add_f64 v[6:7], v[171:172], v[6:7]
	v_add_f64 v[4:5], v[143:144], v[4:5]
	v_mul_f64 v[143:144], v[135:136], s[2:3]
	v_fma_f64 v[171:172], v[129:130], s[0:1], -v[143:144]
	v_fma_f64 v[143:144], v[129:130], s[0:1], v[143:144]
	v_add_f64 v[10:11], v[171:172], v[10:11]
	v_mul_f64 v[171:172], v[106:107], s[42:43]
	v_add_f64 v[8:9], v[143:144], v[8:9]
	v_fma_f64 v[141:142], v[100:101], s[34:35], v[171:172]
	v_fma_f64 v[173:174], v[100:101], s[34:35], -v[171:172]
	v_add_f64 v[4:5], v[141:142], v[4:5]
	v_mul_f64 v[141:142], v[125:126], s[42:43]
	v_add_f64 v[6:7], v[173:174], v[6:7]
	s_mov_b32 s43, 0x3fc7851a
	s_mov_b32 s42, s2
	v_fma_f64 v[171:172], v[88:89], s[34:35], -v[141:142]
	v_fma_f64 v[141:142], v[88:89], s[34:35], v[141:142]
	v_add_f64 v[10:11], v[171:172], v[10:11]
	v_mul_f64 v[171:172], v[104:105], s[44:45]
	v_add_f64 v[8:9], v[141:142], v[8:9]
	v_mul_f64 v[141:142], v[110:111], s[26:27]
	v_fma_f64 v[173:174], v[86:87], s[10:11], -v[171:172]
	v_fma_f64 v[171:172], v[86:87], s[10:11], v[171:172]
	v_add_f64 v[6:7], v[173:174], v[6:7]
	v_fma_f64 v[173:174], v[118:119], s[0:1], v[137:138]
	v_fma_f64 v[137:138], v[118:119], s[0:1], -v[137:138]
	v_add_f64 v[171:172], v[171:172], v[4:5]
	v_mul_f64 v[4:5], v[90:91], s[44:45]
	v_add_f64 v[20:21], v[173:174], v[20:21]
	v_add_f64 v[22:23], v[137:138], v[22:23]
	v_mul_f64 v[137:138], v[114:115], s[48:49]
	v_fma_f64 v[173:174], v[84:85], s[10:11], -v[4:5]
	v_fma_f64 v[4:5], v[84:85], s[10:11], v[4:5]
	v_fma_f64 v[139:140], v[133:134], s[36:37], v[137:138]
	v_fma_f64 v[137:138], v[133:134], s[36:37], -v[137:138]
	v_add_f64 v[10:11], v[173:174], v[10:11]
	v_mul_f64 v[173:174], v[110:111], s[2:3]
	v_add_f64 v[20:21], v[139:140], v[20:21]
	v_add_f64 v[22:23], v[137:138], v[22:23]
	v_mul_f64 v[137:138], v[123:124], s[8:9]
	v_fma_f64 v[175:176], v[116:117], s[0:1], -v[173:174]
	v_mul_f64 v[139:140], v[94:95], s[48:49]
	v_fma_f64 v[143:144], v[127:128], s[10:11], v[137:138]
	v_add_f64 v[163:164], v[175:176], v[163:164]
	v_fma_f64 v[175:176], v[131:132], s[36:37], -v[139:140]
	v_fma_f64 v[139:140], v[131:132], s[36:37], v[139:140]
	v_fma_f64 v[137:138], v[127:128], s[10:11], -v[137:138]
	v_add_f64 v[20:21], v[143:144], v[20:21]
	v_fma_f64 v[143:144], v[116:117], s[0:1], v[173:174]
	v_add_f64 v[163:164], v[175:176], v[163:164]
	v_add_f64 v[22:23], v[137:138], v[22:23]
	v_mul_f64 v[137:138], v[108:109], s[52:53]
	v_add_f64 v[143:144], v[143:144], v[157:158]
	v_mul_f64 v[157:158], v[112:113], s[26:27]
	v_add_f64 v[139:140], v[139:140], v[143:144]
	v_fma_f64 v[173:174], v[118:119], s[24:25], v[157:158]
	v_fma_f64 v[157:158], v[118:119], s[24:25], -v[157:158]
	v_mul_f64 v[143:144], v[114:115], s[42:43]
	v_add_f64 v[151:152], v[173:174], v[151:152]
	v_mul_f64 v[173:174], v[121:122], s[8:9]
	v_add_f64 v[147:148], v[157:158], v[147:148]
	v_fma_f64 v[157:158], v[133:134], s[0:1], v[143:144]
	v_fma_f64 v[143:144], v[133:134], s[0:1], -v[143:144]
	v_fma_f64 v[175:176], v[102:103], s[10:11], -v[173:174]
	v_add_f64 v[151:152], v[157:158], v[151:152]
	v_mul_f64 v[157:158], v[135:136], s[52:53]
	v_add_f64 v[143:144], v[143:144], v[147:148]
	v_fma_f64 v[147:148], v[102:103], s[10:11], v[173:174]
	v_add_f64 v[163:164], v[175:176], v[163:164]
	v_fma_f64 v[175:176], v[116:117], s[24:25], -v[141:142]
	v_fma_f64 v[141:142], v[116:117], s[24:25], v[141:142]
	v_add_f64 v[139:140], v[147:148], v[139:140]
	v_mul_f64 v[147:148], v[123:124], s[48:49]
	v_add_f64 v[165:166], v[175:176], v[165:166]
	v_fma_f64 v[175:176], v[92:93], s[28:29], v[137:138]
	v_fma_f64 v[137:138], v[92:93], s[28:29], -v[137:138]
	v_add_f64 v[141:142], v[141:142], v[159:160]
	v_mul_f64 v[159:160], v[121:122], s[48:49]
	v_fma_f64 v[173:174], v[127:128], s[36:37], v[147:148]
	v_add_f64 v[20:21], v[175:176], v[20:21]
	v_fma_f64 v[175:176], v[129:130], s[28:29], -v[157:158]
	v_add_f64 v[22:23], v[137:138], v[22:23]
	v_mul_f64 v[137:138], v[106:107], s[16:17]
	v_add_f64 v[151:152], v[173:174], v[151:152]
	v_mul_f64 v[173:174], v[125:126], s[16:17]
	;; [unrolled: 2-line block ×3, first 2 shown]
	v_fma_f64 v[177:178], v[131:132], s[0:1], -v[175:176]
	v_add_f64 v[165:166], v[177:178], v[165:166]
	v_fma_f64 v[177:178], v[100:101], s[18:19], v[137:138]
	v_fma_f64 v[137:138], v[100:101], s[18:19], -v[137:138]
	v_add_f64 v[20:21], v[177:178], v[20:21]
	v_fma_f64 v[177:178], v[88:89], s[18:19], -v[173:174]
	v_add_f64 v[22:23], v[137:138], v[22:23]
	v_add_f64 v[137:138], v[4:5], v[8:9]
	v_mul_f64 v[4:5], v[104:105], s[46:47]
	v_add_f64 v[163:164], v[177:178], v[163:164]
	v_fma_f64 v[177:178], v[102:103], s[36:37], -v[159:160]
	v_fma_f64 v[8:9], v[86:87], s[24:25], v[4:5]
	v_fma_f64 v[4:5], v[86:87], s[24:25], -v[4:5]
	v_add_f64 v[165:166], v[177:178], v[165:166]
	v_add_f64 v[177:178], v[8:9], v[20:21]
	v_fma_f64 v[20:21], v[129:130], s[28:29], v[157:158]
	v_fma_f64 v[8:9], v[127:128], s[36:37], -v[147:148]
	v_add_f64 v[22:23], v[4:5], v[22:23]
	v_fma_f64 v[157:158], v[131:132], s[0:1], v[175:176]
	v_mul_f64 v[147:148], v[90:91], s[46:47]
	v_add_f64 v[20:21], v[20:21], v[139:140]
	v_mul_f64 v[139:140], v[108:109], s[22:23]
	v_add_f64 v[8:9], v[8:9], v[143:144]
	v_add_f64 v[141:142], v[157:158], v[141:142]
	v_mul_f64 v[157:158], v[135:136], s[22:23]
	v_fma_f64 v[4:5], v[92:93], s[20:21], -v[139:140]
	v_fma_f64 v[143:144], v[92:93], s[20:21], v[139:140]
	v_add_f64 v[4:5], v[4:5], v[8:9]
	v_fma_f64 v[8:9], v[88:89], s[18:19], v[173:174]
	v_add_f64 v[143:144], v[143:144], v[151:152]
	v_fma_f64 v[151:152], v[84:85], s[24:25], -v[147:148]
	v_add_f64 v[8:9], v[8:9], v[20:21]
	v_mul_f64 v[20:21], v[106:107], s[44:45]
	v_add_f64 v[151:152], v[151:152], v[163:164]
	v_fma_f64 v[163:164], v[129:130], s[20:21], -v[157:158]
	v_fma_f64 v[139:140], v[100:101], s[10:11], v[20:21]
	v_fma_f64 v[20:21], v[100:101], s[10:11], -v[20:21]
	v_add_f64 v[163:164], v[163:164], v[165:166]
	v_add_f64 v[139:140], v[139:140], v[143:144]
	v_fma_f64 v[143:144], v[102:103], s[36:37], v[159:160]
	v_add_f64 v[4:5], v[20:21], v[4:5]
	v_fma_f64 v[20:21], v[129:130], s[20:21], v[157:158]
	v_add_f64 v[141:142], v[143:144], v[141:142]
	v_mul_f64 v[143:144], v[125:126], s[44:45]
	v_add_f64 v[20:21], v[20:21], v[141:142]
	v_mul_f64 v[141:142], v[112:113], s[40:41]
	v_mul_f64 v[112:113], v[112:113], s[50:51]
	v_fma_f64 v[159:160], v[88:89], s[10:11], -v[143:144]
	v_fma_f64 v[157:158], v[118:119], s[34:35], -v[141:142]
	v_fma_f64 v[141:142], v[118:119], s[34:35], v[141:142]
	v_add_f64 v[159:160], v[159:160], v[163:164]
	v_add_f64 v[153:154], v[157:158], v[153:154]
	v_fma_f64 v[157:158], v[118:119], s[20:21], -v[112:113]
	v_fma_f64 v[112:113], v[118:119], s[20:21], v[112:113]
	v_mul_f64 v[118:119], v[110:111], s[40:41]
	v_add_f64 v[141:142], v[141:142], v[149:150]
	v_mul_f64 v[149:150], v[114:115], s[26:27]
	v_mul_f64 v[114:115], v[114:115], s[52:53]
	;; [unrolled: 1-line block ×3, first 2 shown]
	v_add_f64 v[66:67], v[112:113], v[66:67]
	v_fma_f64 v[163:164], v[116:117], s[34:35], v[118:119]
	v_fma_f64 v[118:119], v[116:117], s[34:35], -v[118:119]
	v_mul_f64 v[112:113], v[94:95], s[26:27]
	v_mul_f64 v[94:95], v[94:95], s[52:53]
	v_fma_f64 v[165:166], v[116:117], s[20:21], v[110:111]
	v_fma_f64 v[110:111], v[116:117], s[20:21], -v[110:111]
	v_add_f64 v[116:117], v[157:158], v[155:156]
	v_add_f64 v[157:158], v[163:164], v[169:170]
	;; [unrolled: 1-line block ×3, first 2 shown]
	v_fma_f64 v[161:162], v[133:134], s[24:25], -v[149:150]
	v_fma_f64 v[149:150], v[133:134], s[24:25], v[149:150]
	v_fma_f64 v[163:164], v[131:132], s[28:29], v[94:95]
	v_fma_f64 v[94:95], v[131:132], s[28:29], -v[94:95]
	v_add_f64 v[64:65], v[110:111], v[64:65]
	v_add_f64 v[155:156], v[165:166], v[167:168]
	;; [unrolled: 1-line block ×3, first 2 shown]
	v_fma_f64 v[161:162], v[133:134], s[28:29], -v[114:115]
	v_fma_f64 v[114:115], v[133:134], s[28:29], v[114:115]
	v_fma_f64 v[133:134], v[131:132], s[24:25], v[112:113]
	v_fma_f64 v[112:113], v[131:132], s[24:25], -v[112:113]
	v_add_f64 v[64:65], v[94:95], v[64:65]
	v_add_f64 v[110:111], v[161:162], v[116:117]
	v_add_f64 v[66:67], v[114:115], v[66:67]
	v_add_f64 v[131:132], v[133:134], v[157:158]
	v_add_f64 v[112:113], v[112:113], v[118:119]
	v_mul_f64 v[118:119], v[123:124], s[2:3]
	v_mul_f64 v[123:124], v[123:124], s[40:41]
	v_add_f64 v[133:134], v[149:150], v[141:142]
	v_mul_f64 v[114:115], v[121:122], s[2:3]
	v_mul_f64 v[121:122], v[121:122], s[40:41]
	v_add_f64 v[116:117], v[163:164], v[155:156]
	v_fma_f64 v[141:142], v[127:128], s[0:1], -v[118:119]
	v_fma_f64 v[149:150], v[127:128], s[34:35], -v[123:124]
	v_fma_f64 v[118:119], v[127:128], s[0:1], v[118:119]
	v_fma_f64 v[123:124], v[127:128], s[34:35], v[123:124]
	;; [unrolled: 1-line block ×3, first 2 shown]
	v_fma_f64 v[114:115], v[102:103], s[0:1], -v[114:115]
	v_add_f64 v[141:142], v[141:142], v[153:154]
	v_add_f64 v[94:95], v[149:150], v[110:111]
	v_mul_f64 v[110:111], v[108:109], s[54:55]
	v_fma_f64 v[153:154], v[102:103], s[34:35], v[121:122]
	v_fma_f64 v[102:103], v[102:103], s[34:35], -v[121:122]
	v_mul_f64 v[108:109], v[108:109], s[38:39]
	v_add_f64 v[127:128], v[127:128], v[131:132]
	v_mul_f64 v[131:132], v[135:136], s[38:39]
	v_mul_f64 v[135:136], v[135:136], s[54:55]
	v_add_f64 v[118:119], v[118:119], v[133:134]
	v_mul_f64 v[133:134], v[106:107], s[48:49]
	v_add_f64 v[112:113], v[114:115], v[112:113]
	v_add_f64 v[66:67], v[123:124], v[66:67]
	v_mul_f64 v[106:107], v[106:107], s[26:27]
	v_fma_f64 v[121:122], v[92:93], s[18:19], -v[110:111]
	v_add_f64 v[116:117], v[153:154], v[116:117]
	v_fma_f64 v[110:111], v[92:93], s[18:19], v[110:111]
	v_fma_f64 v[114:115], v[92:93], s[36:37], -v[108:109]
	v_fma_f64 v[92:93], v[92:93], s[36:37], v[108:109]
	v_fma_f64 v[108:109], v[129:130], s[36:37], v[131:132]
	;; [unrolled: 1-line block ×3, first 2 shown]
	v_fma_f64 v[135:136], v[129:130], s[18:19], -v[135:136]
	v_fma_f64 v[129:130], v[129:130], s[36:37], -v[131:132]
	;; [unrolled: 1-line block ×3, first 2 shown]
	v_add_f64 v[64:65], v[102:103], v[64:65]
	v_mul_f64 v[102:103], v[104:105], s[40:41]
	v_add_f64 v[121:122], v[121:122], v[141:142]
	v_mul_f64 v[141:142], v[125:126], s[26:27]
	v_add_f64 v[110:111], v[110:111], v[118:119]
	v_add_f64 v[94:95], v[114:115], v[94:95]
	v_mul_f64 v[114:115], v[104:105], s[30:31]
	v_add_f64 v[108:109], v[108:109], v[116:117]
	v_add_f64 v[116:117], v[123:124], v[127:128]
	v_fma_f64 v[118:119], v[100:101], s[24:25], -v[106:107]
	v_mul_f64 v[104:105], v[104:105], s[16:17]
	v_add_f64 v[66:67], v[92:93], v[66:67]
	v_add_f64 v[112:113], v[135:136], v[112:113]
	v_fma_f64 v[135:136], v[86:87], s[34:35], -v[102:103]
	v_fma_f64 v[102:103], v[86:87], s[34:35], v[102:103]
	v_mul_f64 v[125:126], v[125:126], s[48:49]
	v_mul_f64 v[92:93], v[90:91], s[16:17]
	v_add_f64 v[64:65], v[129:130], v[64:65]
	v_add_f64 v[121:122], v[131:132], v[121:122]
	v_fma_f64 v[123:124], v[88:89], s[24:25], v[141:142]
	v_fma_f64 v[131:132], v[100:101], s[36:37], v[133:134]
	;; [unrolled: 1-line block ×4, first 2 shown]
	v_fma_f64 v[143:144], v[86:87], s[28:29], -v[114:115]
	v_fma_f64 v[114:115], v[86:87], s[28:29], v[114:115]
	v_add_f64 v[94:95], v[118:119], v[94:95]
	v_mul_f64 v[118:119], v[98:99], s[26:27]
	v_add_f64 v[102:103], v[102:103], v[139:140]
	v_fma_f64 v[127:128], v[88:89], s[36:37], v[125:126]
	v_fma_f64 v[106:107], v[88:89], s[36:37], -v[125:126]
	v_mul_f64 v[125:126], v[90:91], s[30:31]
	v_mul_f64 v[90:91], v[90:91], s[40:41]
	v_fma_f64 v[88:89], v[88:89], s[24:25], -v[141:142]
	v_fma_f64 v[129:130], v[84:85], s[18:19], v[92:93]
	v_mul_f64 v[141:142], v[82:83], s[22:23]
	v_add_f64 v[108:109], v[123:124], v[108:109]
	v_fma_f64 v[123:124], v[86:87], s[18:19], -v[104:105]
	v_fma_f64 v[86:87], v[86:87], s[18:19], v[104:105]
	v_add_f64 v[66:67], v[100:101], v[66:67]
	v_add_f64 v[20:21], v[133:134], v[20:21]
	;; [unrolled: 1-line block ×4, first 2 shown]
	v_fma_f64 v[133:134], v[84:85], s[24:25], v[147:148]
	v_mul_f64 v[104:105], v[98:99], s[22:23]
	v_mul_f64 v[100:101], v[98:99], s[16:17]
	;; [unrolled: 1-line block ×4, first 2 shown]
	v_add_f64 v[116:117], v[127:128], v[116:117]
	v_add_f64 v[127:128], v[135:136], v[4:5]
	v_mul_f64 v[135:136], v[98:99], s[8:9]
	v_fma_f64 v[131:132], v[84:85], s[34:35], v[90:91]
	v_mul_f64 v[98:99], v[98:99], s[2:3]
	v_fma_f64 v[90:91], v[84:85], s[34:35], -v[90:91]
	v_add_f64 v[106:107], v[106:107], v[112:113]
	v_fma_f64 v[112:113], v[84:85], s[28:29], v[125:126]
	v_mul_f64 v[4:5], v[82:83], s[26:27]
	v_mul_f64 v[82:83], v[82:83], s[16:17]
	v_fma_f64 v[125:126], v[84:85], s[28:29], -v[125:126]
	v_fma_f64 v[84:85], v[84:85], s[18:19], -v[92:93]
	v_add_f64 v[64:65], v[88:89], v[64:65]
	v_add_f64 v[155:156], v[86:87], v[66:67]
	;; [unrolled: 1-line block ×3, first 2 shown]
	s_clause 0x1
	buffer_load_dword v0, off, s[60:63], 0 offset:44
	buffer_load_dword v1, off, s[60:63], 0 offset:8
	v_add_f64 v[88:89], v[123:124], v[94:95]
	v_add_f64 v[108:109], v[129:130], v[108:109]
	;; [unrolled: 1-line block ×4, first 2 shown]
	v_fma_f64 v[114:115], v[80:81], s[10:11], v[147:148]
	v_fma_f64 v[8:9], v[96:97], s[20:21], -v[104:105]
	v_fma_f64 v[129:130], v[96:97], s[18:19], -v[100:101]
	;; [unrolled: 1-line block ×3, first 2 shown]
	v_add_f64 v[20:21], v[131:132], v[20:21]
	v_fma_f64 v[133:134], v[96:97], s[0:1], -v[98:99]
	v_add_f64 v[139:140], v[90:91], v[159:160]
	v_fma_f64 v[90:91], v[80:81], s[0:1], v[143:144]
	v_add_f64 v[112:113], v[112:113], v[116:117]
	v_fma_f64 v[131:132], v[96:97], s[10:11], -v[135:136]
	v_fma_f64 v[149:150], v[80:81], s[18:19], v[82:83]
	v_fma_f64 v[153:154], v[80:81], s[20:21], v[141:142]
	;; [unrolled: 1-line block ×4, first 2 shown]
	v_fma_f64 v[116:117], v[80:81], s[24:25], -v[4:5]
	v_fma_f64 v[104:105], v[96:97], s[20:21], v[104:105]
	v_fma_f64 v[141:142], v[80:81], s[20:21], -v[141:142]
	v_add_f64 v[106:107], v[125:126], v[106:107]
	v_fma_f64 v[100:101], v[96:97], s[18:19], v[100:101]
	v_fma_f64 v[125:126], v[96:97], s[10:11], v[135:136]
	;; [unrolled: 1-line block ×3, first 2 shown]
	v_fma_f64 v[96:97], v[80:81], s[18:19], -v[82:83]
	v_fma_f64 v[147:148], v[80:81], s[10:11], -v[147:148]
	;; [unrolled: 1-line block ×3, first 2 shown]
	v_add_f64 v[157:158], v[84:85], v[64:65]
	v_add_f64 v[84:85], v[2:3], v[179:180]
	;; [unrolled: 1-line block ×22, first 2 shown]
	s_waitcnt vmcnt(1)
	v_and_b32_e32 v0, 0xffff, v0
	s_waitcnt vmcnt(0)
	v_lshl_add_u32 v0, v0, 4, v1
	ds_write_b128 v0, v[84:87]
	ds_write_b128 v0, v[80:83] offset:16
	ds_write_b128 v0, v[64:67] offset:32
	;; [unrolled: 1-line block ×16, first 2 shown]
.LBB0_13:
	s_or_b32 exec_lo, exec_lo, s33
	s_waitcnt lgkmcnt(0)
	s_barrier
	buffer_gl0_inv
	ds_read_b128 v[0:3], v146 offset:816
	ds_read_b128 v[4:7], v146 offset:1360
	;; [unrolled: 1-line block ×9, first 2 shown]
	ds_read_b128 v[72:75], v146
	s_mov_b32 s8, 0x134454ff
	s_mov_b32 s9, 0xbfee6f0e
	;; [unrolled: 1-line block ×10, first 2 shown]
	s_waitcnt lgkmcnt(9)
	v_mul_f64 v[76:77], v[34:35], v[0:1]
	s_waitcnt lgkmcnt(8)
	v_mul_f64 v[78:79], v[42:43], v[4:5]
	;; [unrolled: 2-line block ×5, first 2 shown]
	v_mul_f64 v[34:35], v[34:35], v[2:3]
	v_mul_f64 v[42:43], v[42:43], v[6:7]
	;; [unrolled: 1-line block ×4, first 2 shown]
	s_waitcnt lgkmcnt(4)
	v_mul_f64 v[86:87], v[62:63], v[22:23]
	v_mul_f64 v[62:63], v[62:63], v[20:21]
	s_waitcnt lgkmcnt(3)
	v_mul_f64 v[88:89], v[58:59], v[26:27]
	v_mul_f64 v[58:59], v[58:59], v[24:25]
	s_waitcnt lgkmcnt(2)
	v_mul_f64 v[90:91], v[54:55], v[66:67]
	s_waitcnt lgkmcnt(1)
	v_mul_f64 v[92:93], v[50:51], v[68:69]
	v_mul_f64 v[54:55], v[54:55], v[64:65]
	;; [unrolled: 1-line block ×4, first 2 shown]
	s_mov_b32 s18, 0x9b97f4a8
	s_mov_b32 s19, 0x3fe9e377
	;; [unrolled: 1-line block ×4, first 2 shown]
	v_fma_f64 v[2:3], v[32:33], v[2:3], -v[76:77]
	v_fma_f64 v[6:7], v[40:41], v[6:7], -v[78:79]
	;; [unrolled: 1-line block ×5, first 2 shown]
	v_fma_f64 v[0:1], v[32:33], v[0:1], v[34:35]
	v_fma_f64 v[4:5], v[40:41], v[4:5], v[42:43]
	;; [unrolled: 1-line block ×5, first 2 shown]
	v_fma_f64 v[22:23], v[60:61], v[22:23], -v[62:63]
	v_fma_f64 v[24:25], v[56:57], v[24:25], v[88:89]
	v_fma_f64 v[26:27], v[56:57], v[26:27], -v[58:59]
	v_fma_f64 v[32:33], v[52:53], v[64:65], v[90:91]
	v_fma_f64 v[34:35], v[48:49], v[70:71], -v[92:93]
	v_fma_f64 v[52:53], v[52:53], v[66:67], -v[54:55]
	v_fma_f64 v[40:41], v[48:49], v[68:69], v[50:51]
	v_fma_f64 v[16:17], v[28:29], v[16:17], v[30:31]
	s_mov_b32 s23, 0xbfe9e377
	s_mov_b32 s22, s18
	v_add_f64 v[84:85], v[2:3], -v[6:7]
	v_add_f64 v[36:37], v[6:7], v[10:11]
	v_add_f64 v[38:39], v[2:3], v[14:15]
	v_add_f64 v[82:83], v[2:3], -v[14:15]
	v_add_f64 v[86:87], v[14:15], -v[10:11]
	;; [unrolled: 1-line block ×3, first 2 shown]
	v_add_f64 v[50:51], v[4:5], v[8:9]
	v_add_f64 v[54:55], v[0:1], v[12:13]
	v_add_f64 v[56:57], v[0:1], -v[12:13]
	v_add_f64 v[58:59], v[4:5], -v[8:9]
	s_waitcnt lgkmcnt(0)
	v_add_f64 v[28:29], v[72:73], v[20:21]
	v_add_f64 v[46:47], v[20:21], -v[24:25]
	v_add_f64 v[30:31], v[24:25], v[32:33]
	v_add_f64 v[80:81], v[22:23], v[34:35]
	;; [unrolled: 1-line block ×3, first 2 shown]
	v_add_f64 v[48:49], v[40:41], -v[32:33]
	v_add_f64 v[60:61], v[20:21], v[40:41]
	v_add_f64 v[88:89], v[6:7], -v[2:3]
	v_add_f64 v[90:91], v[10:11], -v[14:15]
	v_add_f64 v[66:67], v[74:75], v[22:23]
	v_add_f64 v[2:3], v[18:19], v[2:3]
	v_add_f64 v[42:43], v[22:23], -v[34:35]
	v_add_f64 v[44:45], v[26:27], -v[52:53]
	v_fma_f64 v[36:37], v[36:37], -0.5, v[18:19]
	v_fma_f64 v[38:39], v[38:39], -0.5, v[18:19]
	v_add_f64 v[62:63], v[24:25], -v[20:21]
	v_add_f64 v[64:65], v[32:33], -v[40:41]
	;; [unrolled: 1-line block ×3, first 2 shown]
	v_fma_f64 v[50:51], v[50:51], -0.5, v[16:17]
	v_fma_f64 v[54:55], v[54:55], -0.5, v[16:17]
	v_add_f64 v[16:17], v[16:17], v[0:1]
	v_add_f64 v[70:71], v[24:25], -v[32:33]
	v_add_f64 v[100:101], v[0:1], -v[4:5]
	;; [unrolled: 1-line block ×3, first 2 shown]
	v_fma_f64 v[18:19], v[30:31], -0.5, v[72:73]
	v_add_f64 v[24:25], v[28:29], v[24:25]
	v_add_f64 v[0:1], v[4:5], -v[0:1]
	v_add_f64 v[30:31], v[46:47], v[48:49]
	v_fma_f64 v[28:29], v[60:61], -0.5, v[72:73]
	v_fma_f64 v[46:47], v[68:69], -0.5, v[74:75]
	;; [unrolled: 1-line block ×3, first 2 shown]
	v_add_f64 v[60:61], v[84:85], v[86:87]
	v_add_f64 v[104:105], v[8:9], -v[12:13]
	v_add_f64 v[68:69], v[88:89], v[90:91]
	v_add_f64 v[76:77], v[22:23], -v[26:27]
	v_fma_f64 v[96:97], v[56:57], s[2:3], v[36:37]
	v_fma_f64 v[98:99], v[58:59], s[8:9], v[38:39]
	;; [unrolled: 1-line block ×4, first 2 shown]
	v_add_f64 v[22:23], v[26:27], -v[22:23]
	v_fma_f64 v[72:73], v[82:83], s[8:9], v[50:51]
	v_fma_f64 v[74:75], v[92:93], s[2:3], v[54:55]
	;; [unrolled: 1-line block ×4, first 2 shown]
	v_add_f64 v[26:27], v[66:67], v[26:27]
	v_add_f64 v[4:5], v[16:17], v[4:5]
	;; [unrolled: 1-line block ×3, first 2 shown]
	v_add_f64 v[78:79], v[34:35], -v[52:53]
	v_add_f64 v[16:17], v[100:101], v[102:103]
	v_fma_f64 v[6:7], v[42:43], s[8:9], v[18:19]
	v_fma_f64 v[18:19], v[42:43], s[2:3], v[18:19]
	v_add_f64 v[94:95], v[52:53], -v[34:35]
	v_add_f64 v[24:25], v[24:25], v[32:33]
	v_add_f64 v[0:1], v[0:1], v[104:105]
	v_fma_f64 v[80:81], v[58:59], s[16:17], v[96:97]
	v_fma_f64 v[84:85], v[56:57], s[16:17], v[98:99]
	;; [unrolled: 1-line block ×4, first 2 shown]
	v_add_f64 v[56:57], v[62:63], v[64:65]
	v_fma_f64 v[58:59], v[44:45], s[2:3], v[28:29]
	v_fma_f64 v[28:29], v[44:45], s[8:9], v[28:29]
	;; [unrolled: 1-line block ×10, first 2 shown]
	v_add_f64 v[26:27], v[26:27], v[52:53]
	v_add_f64 v[4:5], v[4:5], v[8:9]
	;; [unrolled: 1-line block ×3, first 2 shown]
	v_fma_f64 v[6:7], v[44:45], s[10:11], v[6:7]
	v_fma_f64 v[8:9], v[44:45], s[16:17], v[18:19]
	v_add_f64 v[22:23], v[22:23], v[94:95]
	v_add_f64 v[24:25], v[24:25], v[40:41]
	v_fma_f64 v[74:75], v[60:61], s[0:1], v[80:81]
	v_fma_f64 v[80:81], v[68:69], s[0:1], v[84:85]
	;; [unrolled: 1-line block ×4, first 2 shown]
	v_add_f64 v[60:61], v[76:77], v[78:79]
	v_fma_f64 v[10:11], v[42:43], s[10:11], v[58:59]
	v_fma_f64 v[18:19], v[42:43], s[16:17], v[28:29]
	;; [unrolled: 1-line block ×10, first 2 shown]
	v_add_f64 v[26:27], v[26:27], v[34:35]
	v_add_f64 v[4:5], v[4:5], v[12:13]
	;; [unrolled: 1-line block ×3, first 2 shown]
	v_fma_f64 v[34:35], v[30:31], s[0:1], v[6:7]
	v_fma_f64 v[30:31], v[30:31], s[0:1], v[8:9]
	v_mul_f64 v[48:49], v[74:75], s[10:11]
	v_mul_f64 v[58:59], v[74:75], s[18:19]
	v_mul_f64 v[50:51], v[80:81], s[8:9]
	v_mul_f64 v[62:63], v[80:81], s[0:1]
	v_mul_f64 v[52:53], v[38:39], s[8:9]
	v_mul_f64 v[38:39], v[38:39], s[20:21]
	v_mul_f64 v[54:55], v[36:37], s[10:11]
	v_mul_f64 v[36:37], v[36:37], s[22:23]
	v_fma_f64 v[64:65], v[60:61], s[0:1], v[28:29]
	v_fma_f64 v[40:41], v[56:57], s[0:1], v[10:11]
	;; [unrolled: 1-line block ×6, first 2 shown]
	v_add_f64 v[2:3], v[26:27], v[12:13]
	v_add_f64 v[6:7], v[26:27], -v[12:13]
	v_fma_f64 v[28:29], v[44:45], s[18:19], v[48:49]
	v_fma_f64 v[44:45], v[44:45], s[16:17], v[58:59]
	;; [unrolled: 1-line block ×8, first 2 shown]
	v_add_f64 v[0:1], v[24:25], v[4:5]
	v_add_f64 v[4:5], v[24:25], -v[4:5]
	v_add_f64 v[8:9], v[34:35], v[28:29]
	v_add_f64 v[10:11], v[64:65], v[44:45]
	;; [unrolled: 1-line block ×8, first 2 shown]
	v_add_f64 v[24:25], v[34:35], -v[28:29]
	v_add_f64 v[26:27], v[64:65], -v[44:45]
	;; [unrolled: 1-line block ×8, first 2 shown]
	ds_write_b128 v145, v[0:3]
	ds_write_b128 v145, v[4:7] offset:1360
	ds_write_b128 v145, v[8:11] offset:272
	;; [unrolled: 1-line block ×9, first 2 shown]
	s_waitcnt lgkmcnt(0)
	s_barrier
	buffer_gl0_inv
	s_and_b32 exec_lo, exec_lo, vcc_lo
	s_cbranch_execz .LBB0_15
; %bb.14:
	global_load_dwordx4 v[0:3], v255, s[12:13]
	ds_read_b128 v[4:7], v145
	ds_read_b128 v[8:11], v145 offset:160
	buffer_load_dword v16, off, s[60:63], 0 ; 4-byte Folded Reload
	v_mad_u64_u32 v[14:15], null, s6, v120, 0
	s_mov_b32 s0, 0x18181818
	s_mov_b32 s1, 0x3f781818
	s_mul_i32 s2, s5, 0xa0
	s_mul_hi_u32 s6, s4, 0xa0
	s_mul_i32 s3, s4, 0xa0
	s_add_i32 s2, s6, s2
	s_waitcnt vmcnt(1) lgkmcnt(1)
	v_mul_f64 v[12:13], v[6:7], v[2:3]
	v_mul_f64 v[2:3], v[4:5], v[2:3]
	v_fma_f64 v[4:5], v[4:5], v[0:1], v[12:13]
	v_fma_f64 v[0:1], v[0:1], v[6:7], -v[2:3]
	s_waitcnt vmcnt(0)
	v_mad_u64_u32 v[6:7], null, s4, v16, 0
	v_mov_b32_e32 v2, v15
	v_mov_b32_e32 v3, v7
	v_mad_u64_u32 v[12:13], null, s7, v120, v[2:3]
	v_mad_u64_u32 v[16:17], null, s5, v16, v[3:4]
	v_mov_b32_e32 v15, v12
	v_mul_f64 v[2:3], v[4:5], s[0:1]
	v_mul_f64 v[4:5], v[0:1], s[0:1]
	v_lshlrev_b64 v[0:1], 4, v[14:15]
	v_mov_b32_e32 v7, v16
	v_add_co_u32 v0, vcc_lo, s14, v0
	v_lshlrev_b64 v[6:7], 4, v[6:7]
	v_add_co_ci_u32_e32 v1, vcc_lo, s15, v1, vcc_lo
	v_add_co_u32 v6, vcc_lo, v0, v6
	v_add_co_ci_u32_e32 v7, vcc_lo, v1, v7, vcc_lo
	v_add_co_u32 v14, vcc_lo, v6, s3
	global_store_dwordx4 v[6:7], v[2:5], off
	global_load_dwordx4 v[2:5], v255, s[12:13] offset:160
	v_add_co_ci_u32_e32 v15, vcc_lo, s2, v7, vcc_lo
	s_waitcnt vmcnt(0) lgkmcnt(0)
	v_mul_f64 v[12:13], v[10:11], v[4:5]
	v_mul_f64 v[4:5], v[8:9], v[4:5]
	v_fma_f64 v[8:9], v[8:9], v[2:3], v[12:13]
	v_fma_f64 v[4:5], v[2:3], v[10:11], -v[4:5]
	v_mul_f64 v[2:3], v[8:9], s[0:1]
	v_mul_f64 v[4:5], v[4:5], s[0:1]
	global_store_dwordx4 v[14:15], v[2:5], off
	global_load_dwordx4 v[2:5], v255, s[12:13] offset:320
	ds_read_b128 v[6:9], v145 offset:320
	ds_read_b128 v[10:13], v145 offset:480
	s_waitcnt vmcnt(0) lgkmcnt(1)
	v_mul_f64 v[16:17], v[8:9], v[4:5]
	v_mul_f64 v[4:5], v[6:7], v[4:5]
	v_fma_f64 v[6:7], v[6:7], v[2:3], v[16:17]
	v_fma_f64 v[4:5], v[2:3], v[8:9], -v[4:5]
	v_mul_f64 v[2:3], v[6:7], s[0:1]
	v_mul_f64 v[4:5], v[4:5], s[0:1]
	v_add_co_u32 v6, vcc_lo, v14, s3
	v_add_co_ci_u32_e32 v7, vcc_lo, s2, v15, vcc_lo
	v_add_co_u32 v14, vcc_lo, v6, s3
	v_add_co_ci_u32_e32 v15, vcc_lo, s2, v7, vcc_lo
	global_store_dwordx4 v[6:7], v[2:5], off
	global_load_dwordx4 v[2:5], v255, s[12:13] offset:480
	s_waitcnt vmcnt(0) lgkmcnt(0)
	v_mul_f64 v[8:9], v[12:13], v[4:5]
	v_mul_f64 v[4:5], v[10:11], v[4:5]
	v_fma_f64 v[8:9], v[10:11], v[2:3], v[8:9]
	v_fma_f64 v[4:5], v[2:3], v[12:13], -v[4:5]
	v_mul_f64 v[2:3], v[8:9], s[0:1]
	v_mul_f64 v[4:5], v[4:5], s[0:1]
	global_store_dwordx4 v[14:15], v[2:5], off
	global_load_dwordx4 v[2:5], v255, s[12:13] offset:640
	ds_read_b128 v[6:9], v145 offset:640
	ds_read_b128 v[10:13], v145 offset:800
	s_waitcnt vmcnt(0) lgkmcnt(1)
	v_mul_f64 v[16:17], v[8:9], v[4:5]
	v_mul_f64 v[4:5], v[6:7], v[4:5]
	v_fma_f64 v[6:7], v[6:7], v[2:3], v[16:17]
	v_fma_f64 v[4:5], v[2:3], v[8:9], -v[4:5]
	v_mul_f64 v[2:3], v[6:7], s[0:1]
	v_mul_f64 v[4:5], v[4:5], s[0:1]
	v_add_co_u32 v6, vcc_lo, v14, s3
	v_add_co_ci_u32_e32 v7, vcc_lo, s2, v15, vcc_lo
	v_add_co_u32 v14, vcc_lo, v6, s3
	v_add_co_ci_u32_e32 v15, vcc_lo, s2, v7, vcc_lo
	global_store_dwordx4 v[6:7], v[2:5], off
	global_load_dwordx4 v[2:5], v255, s[12:13] offset:800
	;; [unrolled: 24-line block ×3, first 2 shown]
	s_waitcnt vmcnt(0) lgkmcnt(0)
	v_mul_f64 v[8:9], v[12:13], v[4:5]
	v_mul_f64 v[4:5], v[10:11], v[4:5]
	v_fma_f64 v[8:9], v[10:11], v[2:3], v[8:9]
	v_fma_f64 v[4:5], v[2:3], v[12:13], -v[4:5]
	v_mul_f64 v[2:3], v[8:9], s[0:1]
	v_mul_f64 v[4:5], v[4:5], s[0:1]
	global_store_dwordx4 v[14:15], v[2:5], off
	global_load_dwordx4 v[2:5], v255, s[12:13] offset:1280
	ds_read_b128 v[6:9], v145 offset:1280
	ds_read_b128 v[10:13], v145 offset:1440
	v_mad_u64_u32 v[14:15], null, 0x140, s4, v[14:15]
	s_waitcnt vmcnt(0) lgkmcnt(1)
	v_mul_f64 v[16:17], v[8:9], v[4:5]
	v_mul_f64 v[4:5], v[6:7], v[4:5]
	v_fma_f64 v[6:7], v[6:7], v[2:3], v[16:17]
	v_fma_f64 v[4:5], v[2:3], v[8:9], -v[4:5]
	buffer_load_dword v3, off, s[60:63], 0 offset:52 ; 4-byte Folded Reload
	v_mul_f64 v[4:5], v[4:5], s[0:1]
	s_waitcnt vmcnt(0)
	v_mad_u64_u32 v[8:9], null, s4, v3, 0
	v_mov_b32_e32 v2, v9
	v_mad_u64_u32 v[16:17], null, s5, v3, v[2:3]
	v_mul_f64 v[2:3], v[6:7], s[0:1]
	v_mov_b32_e32 v9, v16
	v_lshlrev_b64 v[6:7], 4, v[8:9]
	v_add_co_u32 v6, vcc_lo, v0, v6
	v_add_co_ci_u32_e32 v7, vcc_lo, v1, v7, vcc_lo
	global_store_dwordx4 v[6:7], v[2:5], off
	global_load_dwordx4 v[2:5], v255, s[12:13] offset:1440
	s_waitcnt vmcnt(0) lgkmcnt(0)
	v_mul_f64 v[6:7], v[12:13], v[4:5]
	v_mul_f64 v[4:5], v[10:11], v[4:5]
	v_fma_f64 v[6:7], v[10:11], v[2:3], v[6:7]
	v_fma_f64 v[4:5], v[2:3], v[12:13], -v[4:5]
	v_mul_f64 v[2:3], v[6:7], s[0:1]
	v_mul_f64 v[4:5], v[4:5], s[0:1]
	v_mov_b32_e32 v6, v15
	v_mad_u64_u32 v[6:7], null, 0x140, s5, v[6:7]
	v_mov_b32_e32 v15, v6
	global_store_dwordx4 v[14:15], v[2:5], off
	global_load_dwordx4 v[2:5], v255, s[12:13] offset:1600
	ds_read_b128 v[6:9], v145 offset:1600
	ds_read_b128 v[10:13], v145 offset:1760
	s_waitcnt vmcnt(0) lgkmcnt(1)
	v_mul_f64 v[16:17], v[8:9], v[4:5]
	v_mul_f64 v[4:5], v[6:7], v[4:5]
	v_fma_f64 v[6:7], v[6:7], v[2:3], v[16:17]
	v_fma_f64 v[4:5], v[2:3], v[8:9], -v[4:5]
	v_mul_f64 v[2:3], v[6:7], s[0:1]
	v_mul_f64 v[4:5], v[4:5], s[0:1]
	v_add_co_u32 v6, vcc_lo, v14, s3
	v_add_co_ci_u32_e32 v7, vcc_lo, s2, v15, vcc_lo
	v_add_co_u32 v14, vcc_lo, v6, s3
	v_add_co_ci_u32_e32 v15, vcc_lo, s2, v7, vcc_lo
	global_store_dwordx4 v[6:7], v[2:5], off
	global_load_dwordx4 v[2:5], v255, s[12:13] offset:1760
	s_waitcnt vmcnt(0) lgkmcnt(0)
	v_mul_f64 v[8:9], v[12:13], v[4:5]
	v_mul_f64 v[4:5], v[10:11], v[4:5]
	v_fma_f64 v[8:9], v[10:11], v[2:3], v[8:9]
	v_fma_f64 v[4:5], v[2:3], v[12:13], -v[4:5]
	v_mul_f64 v[2:3], v[8:9], s[0:1]
	v_mul_f64 v[4:5], v[4:5], s[0:1]
	global_store_dwordx4 v[14:15], v[2:5], off
	global_load_dwordx4 v[2:5], v255, s[12:13] offset:1920
	ds_read_b128 v[6:9], v145 offset:1920
	ds_read_b128 v[10:13], v145 offset:2080
	s_waitcnt vmcnt(0) lgkmcnt(1)
	v_mul_f64 v[16:17], v[8:9], v[4:5]
	v_mul_f64 v[4:5], v[6:7], v[4:5]
	v_fma_f64 v[6:7], v[6:7], v[2:3], v[16:17]
	v_fma_f64 v[4:5], v[2:3], v[8:9], -v[4:5]
	v_add_co_u32 v8, s6, s12, v255
	v_add_co_ci_u32_e64 v9, null, s13, 0, s6
	v_mul_f64 v[2:3], v[6:7], s[0:1]
	v_mul_f64 v[4:5], v[4:5], s[0:1]
	v_add_co_u32 v6, vcc_lo, v14, s3
	v_add_co_ci_u32_e32 v7, vcc_lo, s2, v15, vcc_lo
	v_add_co_u32 v14, vcc_lo, 0x800, v8
	v_add_co_ci_u32_e32 v15, vcc_lo, 0, v9, vcc_lo
	;; [unrolled: 2-line block ×3, first 2 shown]
	global_store_dwordx4 v[6:7], v[2:5], off
	global_load_dwordx4 v[2:5], v[14:15], off offset:32
	s_waitcnt vmcnt(0) lgkmcnt(0)
	v_mul_f64 v[8:9], v[12:13], v[4:5]
	v_mul_f64 v[4:5], v[10:11], v[4:5]
	v_fma_f64 v[8:9], v[10:11], v[2:3], v[8:9]
	v_fma_f64 v[4:5], v[2:3], v[12:13], -v[4:5]
	v_mul_f64 v[2:3], v[8:9], s[0:1]
	v_mul_f64 v[4:5], v[4:5], s[0:1]
	global_store_dwordx4 v[16:17], v[2:5], off
	global_load_dwordx4 v[2:5], v[14:15], off offset:192
	ds_read_b128 v[6:9], v145 offset:2240
	ds_read_b128 v[10:13], v145 offset:2400
	s_waitcnt vmcnt(0) lgkmcnt(1)
	v_mul_f64 v[18:19], v[8:9], v[4:5]
	v_mul_f64 v[4:5], v[6:7], v[4:5]
	v_fma_f64 v[6:7], v[6:7], v[2:3], v[18:19]
	v_fma_f64 v[4:5], v[2:3], v[8:9], -v[4:5]
	v_mul_f64 v[2:3], v[6:7], s[0:1]
	v_mul_f64 v[4:5], v[4:5], s[0:1]
	v_add_co_u32 v6, vcc_lo, v16, s3
	v_add_co_ci_u32_e32 v7, vcc_lo, s2, v17, vcc_lo
	global_store_dwordx4 v[6:7], v[2:5], off
	global_load_dwordx4 v[2:5], v[14:15], off offset:352
	v_add_co_u32 v6, vcc_lo, v6, s3
	v_add_co_ci_u32_e32 v7, vcc_lo, s2, v7, vcc_lo
	s_waitcnt vmcnt(0) lgkmcnt(0)
	v_mul_f64 v[8:9], v[12:13], v[4:5]
	v_mul_f64 v[4:5], v[10:11], v[4:5]
	v_fma_f64 v[8:9], v[10:11], v[2:3], v[8:9]
	v_fma_f64 v[4:5], v[2:3], v[12:13], -v[4:5]
	buffer_load_dword v12, off, s[60:63], 0 offset:48 ; 4-byte Folded Reload
	v_mul_f64 v[2:3], v[8:9], s[0:1]
	v_mul_f64 v[4:5], v[4:5], s[0:1]
	global_store_dwordx4 v[6:7], v[2:5], off
	s_waitcnt vmcnt(0)
	v_lshlrev_b32_e32 v8, 4, v12
	global_load_dwordx4 v[2:5], v8, s[12:13]
	ds_read_b128 v[6:9], v145 offset:2560
	s_waitcnt vmcnt(0) lgkmcnt(0)
	v_mul_f64 v[10:11], v[8:9], v[4:5]
	v_mul_f64 v[4:5], v[6:7], v[4:5]
	v_fma_f64 v[6:7], v[6:7], v[2:3], v[10:11]
	v_fma_f64 v[4:5], v[2:3], v[8:9], -v[4:5]
	v_mad_u64_u32 v[8:9], null, s4, v12, 0
	v_mov_b32_e32 v2, v9
	v_mad_u64_u32 v[9:10], null, s5, v12, v[2:3]
	v_mul_f64 v[2:3], v[6:7], s[0:1]
	v_mul_f64 v[4:5], v[4:5], s[0:1]
	v_lshlrev_b64 v[6:7], 4, v[8:9]
	v_add_co_u32 v0, vcc_lo, v0, v6
	v_add_co_ci_u32_e32 v1, vcc_lo, v1, v7, vcc_lo
	global_store_dwordx4 v[0:1], v[2:5], off
.LBB0_15:
	s_endpgm
	.section	.rodata,"a",@progbits
	.p2align	6, 0x0
	.amdhsa_kernel bluestein_single_fwd_len170_dim1_dp_op_CI_CI
		.amdhsa_group_segment_fixed_size 19040
		.amdhsa_private_segment_fixed_size 580
		.amdhsa_kernarg_size 104
		.amdhsa_user_sgpr_count 6
		.amdhsa_user_sgpr_private_segment_buffer 1
		.amdhsa_user_sgpr_dispatch_ptr 0
		.amdhsa_user_sgpr_queue_ptr 0
		.amdhsa_user_sgpr_kernarg_segment_ptr 1
		.amdhsa_user_sgpr_dispatch_id 0
		.amdhsa_user_sgpr_flat_scratch_init 0
		.amdhsa_user_sgpr_private_segment_size 0
		.amdhsa_wavefront_size32 1
		.amdhsa_uses_dynamic_stack 0
		.amdhsa_system_sgpr_private_segment_wavefront_offset 1
		.amdhsa_system_sgpr_workgroup_id_x 1
		.amdhsa_system_sgpr_workgroup_id_y 0
		.amdhsa_system_sgpr_workgroup_id_z 0
		.amdhsa_system_sgpr_workgroup_info 0
		.amdhsa_system_vgpr_workitem_id 0
		.amdhsa_next_free_vgpr 256
		.amdhsa_next_free_sgpr 64
		.amdhsa_reserve_vcc 1
		.amdhsa_reserve_flat_scratch 0
		.amdhsa_float_round_mode_32 0
		.amdhsa_float_round_mode_16_64 0
		.amdhsa_float_denorm_mode_32 3
		.amdhsa_float_denorm_mode_16_64 3
		.amdhsa_dx10_clamp 1
		.amdhsa_ieee_mode 1
		.amdhsa_fp16_overflow 0
		.amdhsa_workgroup_processor_mode 1
		.amdhsa_memory_ordered 1
		.amdhsa_forward_progress 0
		.amdhsa_shared_vgpr_count 0
		.amdhsa_exception_fp_ieee_invalid_op 0
		.amdhsa_exception_fp_denorm_src 0
		.amdhsa_exception_fp_ieee_div_zero 0
		.amdhsa_exception_fp_ieee_overflow 0
		.amdhsa_exception_fp_ieee_underflow 0
		.amdhsa_exception_fp_ieee_inexact 0
		.amdhsa_exception_int_div_zero 0
	.end_amdhsa_kernel
	.text
.Lfunc_end0:
	.size	bluestein_single_fwd_len170_dim1_dp_op_CI_CI, .Lfunc_end0-bluestein_single_fwd_len170_dim1_dp_op_CI_CI
                                        ; -- End function
	.section	.AMDGPU.csdata,"",@progbits
; Kernel info:
; codeLenInByte = 25204
; NumSgprs: 66
; NumVgprs: 256
; ScratchSize: 580
; MemoryBound: 0
; FloatMode: 240
; IeeeMode: 1
; LDSByteSize: 19040 bytes/workgroup (compile time only)
; SGPRBlocks: 8
; VGPRBlocks: 31
; NumSGPRsForWavesPerEU: 66
; NumVGPRsForWavesPerEU: 256
; Occupancy: 4
; WaveLimiterHint : 1
; COMPUTE_PGM_RSRC2:SCRATCH_EN: 1
; COMPUTE_PGM_RSRC2:USER_SGPR: 6
; COMPUTE_PGM_RSRC2:TRAP_HANDLER: 0
; COMPUTE_PGM_RSRC2:TGID_X_EN: 1
; COMPUTE_PGM_RSRC2:TGID_Y_EN: 0
; COMPUTE_PGM_RSRC2:TGID_Z_EN: 0
; COMPUTE_PGM_RSRC2:TIDIG_COMP_CNT: 0
	.text
	.p2alignl 6, 3214868480
	.fill 48, 4, 3214868480
	.type	__hip_cuid_9c1921d0ff7e3ec4,@object ; @__hip_cuid_9c1921d0ff7e3ec4
	.section	.bss,"aw",@nobits
	.globl	__hip_cuid_9c1921d0ff7e3ec4
__hip_cuid_9c1921d0ff7e3ec4:
	.byte	0                               ; 0x0
	.size	__hip_cuid_9c1921d0ff7e3ec4, 1

	.ident	"AMD clang version 19.0.0git (https://github.com/RadeonOpenCompute/llvm-project roc-6.4.0 25133 c7fe45cf4b819c5991fe208aaa96edf142730f1d)"
	.section	".note.GNU-stack","",@progbits
	.addrsig
	.addrsig_sym __hip_cuid_9c1921d0ff7e3ec4
	.amdgpu_metadata
---
amdhsa.kernels:
  - .args:
      - .actual_access:  read_only
        .address_space:  global
        .offset:         0
        .size:           8
        .value_kind:     global_buffer
      - .actual_access:  read_only
        .address_space:  global
        .offset:         8
        .size:           8
        .value_kind:     global_buffer
      - .actual_access:  read_only
        .address_space:  global
        .offset:         16
        .size:           8
        .value_kind:     global_buffer
      - .actual_access:  read_only
        .address_space:  global
        .offset:         24
        .size:           8
        .value_kind:     global_buffer
      - .actual_access:  read_only
        .address_space:  global
        .offset:         32
        .size:           8
        .value_kind:     global_buffer
      - .offset:         40
        .size:           8
        .value_kind:     by_value
      - .address_space:  global
        .offset:         48
        .size:           8
        .value_kind:     global_buffer
      - .address_space:  global
        .offset:         56
        .size:           8
        .value_kind:     global_buffer
      - .address_space:  global
        .offset:         64
        .size:           8
        .value_kind:     global_buffer
      - .address_space:  global
        .offset:         72
        .size:           8
        .value_kind:     global_buffer
      - .offset:         80
        .size:           4
        .value_kind:     by_value
      - .address_space:  global
        .offset:         88
        .size:           8
        .value_kind:     global_buffer
      - .address_space:  global
        .offset:         96
        .size:           8
        .value_kind:     global_buffer
    .group_segment_fixed_size: 19040
    .kernarg_segment_align: 8
    .kernarg_segment_size: 104
    .language:       OpenCL C
    .language_version:
      - 2
      - 0
    .max_flat_workgroup_size: 119
    .name:           bluestein_single_fwd_len170_dim1_dp_op_CI_CI
    .private_segment_fixed_size: 580
    .sgpr_count:     66
    .sgpr_spill_count: 0
    .symbol:         bluestein_single_fwd_len170_dim1_dp_op_CI_CI.kd
    .uniform_work_group_size: 1
    .uses_dynamic_stack: false
    .vgpr_count:     256
    .vgpr_spill_count: 154
    .wavefront_size: 32
    .workgroup_processor_mode: 1
amdhsa.target:   amdgcn-amd-amdhsa--gfx1030
amdhsa.version:
  - 1
  - 2
...

	.end_amdgpu_metadata
